;; amdgpu-corpus repo=ROCm/rocFFT kind=compiled arch=gfx906 opt=O3
	.text
	.amdgcn_target "amdgcn-amd-amdhsa--gfx906"
	.amdhsa_code_object_version 6
	.protected	bluestein_single_back_len357_dim1_half_op_CI_CI ; -- Begin function bluestein_single_back_len357_dim1_half_op_CI_CI
	.globl	bluestein_single_back_len357_dim1_half_op_CI_CI
	.p2align	8
	.type	bluestein_single_back_len357_dim1_half_op_CI_CI,@function
bluestein_single_back_len357_dim1_half_op_CI_CI: ; @bluestein_single_back_len357_dim1_half_op_CI_CI
; %bb.0:
	v_mul_u32_u24_e32 v1, 0xf10, v0
	s_load_dwordx4 s[8:11], s[4:5], 0x28
	v_lshrrev_b32_e32 v1, 16, v1
	v_mad_u64_u32 v[14:15], s[0:1], s6, 11, v[1:2]
	v_mov_b32_e32 v15, 0
	s_waitcnt lgkmcnt(0)
	v_cmp_gt_u64_e32 vcc, s[8:9], v[14:15]
	s_and_saveexec_b64 s[0:1], vcc
	s_cbranch_execz .LBB0_15
; %bb.1:
	s_load_dwordx4 s[0:3], s[4:5], 0x18
	v_mul_lo_u16_e32 v1, 17, v1
	v_sub_u16_e32 v66, v0, v1
	v_lshlrev_b32_e32 v44, 2, v66
	s_waitcnt lgkmcnt(0)
	s_load_dwordx4 s[12:15], s[0:1], 0x0
	s_waitcnt lgkmcnt(0)
	v_mad_u64_u32 v[4:5], s[0:1], s12, v66, 0
	v_mad_u64_u32 v[0:1], s[0:1], s14, v14, 0
	v_mov_b32_e32 v2, v5
	v_mad_u64_u32 v[5:6], s[0:1], s15, v14, v[1:2]
	v_mad_u64_u32 v[2:3], s[0:1], s13, v66, v[2:3]
	v_mov_b32_e32 v1, v5
	v_lshlrev_b64 v[0:1], 2, v[0:1]
	s_load_dwordx2 s[14:15], s[4:5], 0x0
	v_mov_b32_e32 v3, s11
	v_mov_b32_e32 v5, v2
	v_add_co_u32_e32 v2, vcc, s10, v0
	v_addc_co_u32_e32 v3, vcc, v3, v1, vcc
	v_lshlrev_b64 v[0:1], 2, v[4:5]
	s_mul_i32 s0, s13, 21
	s_mul_hi_u32 s1, s12, 21
	v_add_co_u32_e32 v0, vcc, v2, v0
	s_add_i32 s1, s1, s0
	s_mul_i32 s0, s12, 21
	v_addc_co_u32_e32 v1, vcc, v3, v1, vcc
	s_lshl_b64 s[16:17], s[0:1], 2
	global_load_dword v4, v[0:1], off
	s_waitcnt lgkmcnt(0)
	global_load_dword v83, v44, s[14:15]
	v_mov_b32_e32 v5, s17
	v_add_co_u32_e32 v0, vcc, s16, v0
	v_addc_co_u32_e32 v1, vcc, v1, v5, vcc
	global_load_dword v6, v[0:1], off
	global_load_dword v82, v44, s[14:15] offset:84
	v_add_co_u32_e32 v0, vcc, s16, v0
	v_addc_co_u32_e32 v1, vcc, v1, v5, vcc
	global_load_dword v7, v[0:1], off
	global_load_dword v81, v44, s[14:15] offset:168
	;; [unrolled: 4-line block ×3, first 2 shown]
	s_mov_b32 s0, 0xba2e8ba3
	v_mul_hi_u32 v9, v14, s0
	v_mov_b32_e32 v10, s15
	v_add_co_u32_e32 v12, vcc, s14, v44
	v_lshrrev_b32_e32 v9, 3, v9
	v_mul_lo_u32 v9, v9, 11
	v_addc_co_u32_e32 v13, vcc, 0, v10, vcc
	v_add_co_u32_e32 v0, vcc, s16, v0
	v_sub_u32_e32 v9, v14, v9
	v_addc_co_u32_e32 v1, vcc, v1, v5, vcc
	s_load_dwordx2 s[6:7], s[4:5], 0x38
	s_load_dwordx4 s[8:11], s[2:3], 0x0
	global_load_dword v79, v44, s[14:15] offset:336
	global_load_dword v78, v44, s[14:15] offset:420
	;; [unrolled: 1-line block ×4, first 2 shown]
	v_mul_u32_u24_e32 v45, 0x165, v9
	global_load_dword v9, v[0:1], off
	v_add_co_u32_e32 v0, vcc, s16, v0
	v_addc_co_u32_e32 v1, vcc, v1, v5, vcc
	global_load_dword v10, v[0:1], off
	v_add_co_u32_e32 v0, vcc, s16, v0
	v_addc_co_u32_e32 v1, vcc, v1, v5, vcc
	global_load_dword v11, v[0:1], off
	v_lshlrev_b32_e32 v84, 2, v45
	v_add_co_u32_e32 v0, vcc, s16, v0
	v_add_u32_e32 v65, v44, v84
	v_addc_co_u32_e32 v1, vcc, v1, v5, vcc
	s_waitcnt vmcnt(14)
	v_lshrrev_b32_e32 v15, 16, v4
	s_waitcnt vmcnt(13)
	v_mul_f16_sdwa v16, v83, v4 dst_sel:DWORD dst_unused:UNUSED_PAD src0_sel:WORD_1 src1_sel:DWORD
	v_mul_f16_sdwa v17, v83, v15 dst_sel:DWORD dst_unused:UNUSED_PAD src0_sel:WORD_1 src1_sel:DWORD
	v_fma_f16 v15, v83, v15, -v16
	v_fma_f16 v4, v83, v4, v17
	v_pack_b32_f16 v4, v4, v15
	s_waitcnt vmcnt(12)
	v_lshrrev_b32_e32 v16, 16, v6
	s_waitcnt vmcnt(11)
	v_mul_f16_sdwa v18, v82, v6 dst_sel:DWORD dst_unused:UNUSED_PAD src0_sel:WORD_1 src1_sel:DWORD
	v_mul_f16_sdwa v17, v82, v16 dst_sel:DWORD dst_unused:UNUSED_PAD src0_sel:WORD_1 src1_sel:DWORD
	v_fma_f16 v16, v82, v16, -v18
	v_fma_f16 v6, v82, v6, v17
	v_pack_b32_f16 v6, v6, v16
	ds_write2_b32 v65, v4, v6 offset1:21
	global_load_dword v6, v[0:1], off
	s_waitcnt vmcnt(11)
	v_lshrrev_b32_e32 v18, 16, v7
	v_add_co_u32_e32 v0, vcc, s16, v0
	s_waitcnt vmcnt(10)
	v_mul_f16_sdwa v15, v81, v18 dst_sel:DWORD dst_unused:UNUSED_PAD src0_sel:WORD_1 src1_sel:DWORD
	v_addc_co_u32_e32 v1, vcc, v1, v5, vcc
	v_mul_f16_sdwa v19, v81, v7 dst_sel:DWORD dst_unused:UNUSED_PAD src0_sel:WORD_1 src1_sel:DWORD
	v_fma_f16 v7, v81, v7, v15
	global_load_dword v15, v[0:1], off
	global_load_dword v75, v44, s[14:15] offset:672
	v_add_co_u32_e32 v0, vcc, s16, v0
	v_addc_co_u32_e32 v1, vcc, v1, v5, vcc
	global_load_dword v16, v[0:1], off
	global_load_dword v74, v44, s[14:15] offset:756
	v_add_co_u32_e32 v0, vcc, s16, v0
	v_fma_f16 v17, v81, v18, -v19
	v_addc_co_u32_e32 v1, vcc, v1, v5, vcc
	v_pack_b32_f16 v4, v7, v17
	global_load_dword v17, v[0:1], off
	global_load_dword v73, v44, s[14:15] offset:840
	v_add_co_u32_e32 v0, vcc, s16, v0
	v_addc_co_u32_e32 v1, vcc, v1, v5, vcc
	global_load_dword v19, v[0:1], off
	global_load_dword v72, v44, s[14:15] offset:924
	s_waitcnt vmcnt(17)
	v_lshrrev_b32_e32 v18, 16, v8
	s_waitcnt vmcnt(16)
	v_mul_f16_sdwa v7, v80, v18 dst_sel:DWORD dst_unused:UNUSED_PAD src0_sel:WORD_1 src1_sel:DWORD
	v_add_co_u32_e32 v0, vcc, s16, v0
	v_fma_f16 v7, v80, v8, v7
	v_mul_f16_sdwa v8, v80, v8 dst_sel:DWORD dst_unused:UNUSED_PAD src0_sel:WORD_1 src1_sel:DWORD
	v_addc_co_u32_e32 v1, vcc, v1, v5, vcc
	v_fma_f16 v8, v80, v18, -v8
	global_load_dword v18, v[0:1], off
	global_load_dword v71, v44, s[14:15] offset:1008
	v_add_co_u32_e32 v0, vcc, s16, v0
	v_addc_co_u32_e32 v1, vcc, v1, v5, vcc
	global_load_dword v20, v[0:1], off
	global_load_dword v70, v44, s[14:15] offset:1092
	v_pack_b32_f16 v7, v7, v8
	v_add_co_u32_e32 v0, vcc, s16, v0
	ds_write2_b32 v65, v4, v7 offset0:42 offset1:63
	v_addc_co_u32_e32 v1, vcc, v1, v5, vcc
	global_load_dword v7, v[0:1], off
	global_load_dword v69, v44, s[14:15] offset:1176
	v_add_co_u32_e32 v0, vcc, s16, v0
	v_addc_co_u32_e32 v1, vcc, v1, v5, vcc
	global_load_dword v8, v[0:1], off
	global_load_dword v68, v44, s[14:15] offset:1260
	v_add_co_u32_e32 v0, vcc, s16, v0
	v_addc_co_u32_e32 v1, vcc, v1, v5, vcc
	global_load_dword v22, v[0:1], off
	global_load_dword v67, v44, s[14:15] offset:1344
	s_waitcnt vmcnt(21)
	v_lshrrev_b32_e32 v4, 16, v9
	v_mul_f16_sdwa v21, v79, v4 dst_sel:DWORD dst_unused:UNUSED_PAD src0_sel:WORD_1 src1_sel:DWORD
	v_fma_f16 v5, v79, v9, v21
	v_mul_f16_sdwa v9, v79, v9 dst_sel:DWORD dst_unused:UNUSED_PAD src0_sel:WORD_1 src1_sel:DWORD
	v_fma_f16 v4, v79, v4, -v9
	v_pack_b32_f16 v4, v5, v4
	s_waitcnt vmcnt(20)
	v_lshrrev_b32_e32 v5, 16, v10
	v_mul_f16_sdwa v9, v78, v5 dst_sel:DWORD dst_unused:UNUSED_PAD src0_sel:WORD_1 src1_sel:DWORD
	v_fma_f16 v9, v78, v10, v9
	v_mul_f16_sdwa v10, v78, v10 dst_sel:DWORD dst_unused:UNUSED_PAD src0_sel:WORD_1 src1_sel:DWORD
	v_fma_f16 v5, v78, v5, -v10
	v_pack_b32_f16 v5, v9, v5
	ds_write2_b32 v65, v4, v5 offset0:84 offset1:105
	s_waitcnt vmcnt(19)
	v_lshrrev_b32_e32 v4, 16, v11
	v_mul_f16_sdwa v5, v77, v4 dst_sel:DWORD dst_unused:UNUSED_PAD src0_sel:WORD_1 src1_sel:DWORD
	v_mul_f16_sdwa v9, v77, v11 dst_sel:DWORD dst_unused:UNUSED_PAD src0_sel:WORD_1 src1_sel:DWORD
	v_fma_f16 v5, v77, v11, v5
	v_fma_f16 v4, v77, v4, -v9
	v_pack_b32_f16 v4, v5, v4
	v_cmp_gt_u16_e32 vcc, 4, v66
	s_waitcnt vmcnt(18)
	v_lshrrev_b32_e32 v5, 16, v6
	v_mul_f16_sdwa v9, v76, v5 dst_sel:DWORD dst_unused:UNUSED_PAD src0_sel:WORD_1 src1_sel:DWORD
	v_fma_f16 v9, v76, v6, v9
	v_mul_f16_sdwa v6, v76, v6 dst_sel:DWORD dst_unused:UNUSED_PAD src0_sel:WORD_1 src1_sel:DWORD
	v_fma_f16 v5, v76, v5, -v6
	v_pack_b32_f16 v5, v9, v5
	ds_write2_b32 v65, v4, v5 offset0:126 offset1:147
	s_waitcnt vmcnt(17)
	v_lshrrev_b32_e32 v4, 16, v15
	s_waitcnt vmcnt(16)
	v_mul_f16_sdwa v5, v75, v4 dst_sel:DWORD dst_unused:UNUSED_PAD src0_sel:WORD_1 src1_sel:DWORD
	v_mul_f16_sdwa v6, v75, v15 dst_sel:DWORD dst_unused:UNUSED_PAD src0_sel:WORD_1 src1_sel:DWORD
	v_fma_f16 v5, v75, v15, v5
	v_fma_f16 v4, v75, v4, -v6
	v_pack_b32_f16 v4, v5, v4
	s_waitcnt vmcnt(15)
	v_lshrrev_b32_e32 v5, 16, v16
	s_waitcnt vmcnt(14)
	v_mul_f16_sdwa v6, v74, v5 dst_sel:DWORD dst_unused:UNUSED_PAD src0_sel:WORD_1 src1_sel:DWORD
	v_mul_f16_sdwa v9, v74, v16 dst_sel:DWORD dst_unused:UNUSED_PAD src0_sel:WORD_1 src1_sel:DWORD
	v_fma_f16 v6, v74, v16, v6
	v_fma_f16 v5, v74, v5, -v9
	v_pack_b32_f16 v5, v6, v5
	ds_write2_b32 v65, v4, v5 offset0:168 offset1:189
	s_waitcnt vmcnt(13)
	v_lshrrev_b32_e32 v4, 16, v17
	s_waitcnt vmcnt(12)
	v_mul_f16_sdwa v5, v73, v4 dst_sel:DWORD dst_unused:UNUSED_PAD src0_sel:WORD_1 src1_sel:DWORD
	v_mul_f16_sdwa v6, v73, v17 dst_sel:DWORD dst_unused:UNUSED_PAD src0_sel:WORD_1 src1_sel:DWORD
	v_fma_f16 v5, v73, v17, v5
	v_fma_f16 v4, v73, v4, -v6
	v_pack_b32_f16 v4, v5, v4
	s_waitcnt vmcnt(11)
	v_lshrrev_b32_e32 v5, 16, v19
	s_waitcnt vmcnt(10)
	v_mul_f16_sdwa v6, v72, v5 dst_sel:DWORD dst_unused:UNUSED_PAD src0_sel:WORD_1 src1_sel:DWORD
	v_mul_f16_sdwa v9, v72, v19 dst_sel:DWORD dst_unused:UNUSED_PAD src0_sel:WORD_1 src1_sel:DWORD
	v_fma_f16 v6, v72, v19, v6
	;; [unrolled: 17-line block ×3, first 2 shown]
	v_fma_f16 v4, v70, v4, -v9
	v_pack_b32_f16 v6, v6, v4
	v_add_u32_e32 v4, 0x200, v65
	ds_write2_b32 v4, v5, v6 offset0:124 offset1:145
	s_waitcnt vmcnt(5)
	v_lshrrev_b32_e32 v5, 16, v7
	s_waitcnt vmcnt(4)
	v_mul_f16_sdwa v6, v69, v5 dst_sel:DWORD dst_unused:UNUSED_PAD src0_sel:WORD_1 src1_sel:DWORD
	v_fma_f16 v6, v69, v7, v6
	v_mul_f16_sdwa v7, v69, v7 dst_sel:DWORD dst_unused:UNUSED_PAD src0_sel:WORD_1 src1_sel:DWORD
	v_fma_f16 v5, v69, v5, -v7
	v_pack_b32_f16 v6, v6, v5
	s_waitcnt vmcnt(3)
	v_lshrrev_b32_e32 v5, 16, v8
	s_waitcnt vmcnt(2)
	v_mul_f16_sdwa v7, v68, v5 dst_sel:DWORD dst_unused:UNUSED_PAD src0_sel:WORD_1 src1_sel:DWORD
	v_fma_f16 v7, v68, v8, v7
	v_mul_f16_sdwa v8, v68, v8 dst_sel:DWORD dst_unused:UNUSED_PAD src0_sel:WORD_1 src1_sel:DWORD
	v_fma_f16 v5, v68, v5, -v8
	v_pack_b32_f16 v7, v7, v5
	v_add_u32_e32 v5, 0x400, v65
	ds_write2_b32 v5, v6, v7 offset0:38 offset1:59
	s_waitcnt vmcnt(1)
	v_lshrrev_b32_e32 v6, 16, v22
	s_waitcnt vmcnt(0)
	v_mul_f16_sdwa v7, v67, v6 dst_sel:DWORD dst_unused:UNUSED_PAD src0_sel:WORD_1 src1_sel:DWORD
	v_mul_f16_sdwa v8, v67, v22 dst_sel:DWORD dst_unused:UNUSED_PAD src0_sel:WORD_1 src1_sel:DWORD
	v_fma_f16 v7, v67, v22, v7
	v_fma_f16 v6, v67, v6, -v8
	v_pack_b32_f16 v6, v7, v6
	ds_write_b32 v65, v6 offset:1344
	s_and_saveexec_b64 s[2:3], vcc
	s_cbranch_execz .LBB0_3
; %bb.2:
	v_mov_b32_e32 v6, 0xfffffb04
	v_mad_u64_u32 v[0:1], s[0:1], s12, v6, v[0:1]
	s_mul_i32 s0, s13, 0xfffffb04
	s_sub_i32 s0, s0, s12
	v_add_u32_e32 v1, s0, v1
	global_load_dword v9, v[0:1], off
	global_load_dword v10, v[12:13], off offset:68
	v_mov_b32_e32 v11, s17
	v_add_co_u32_e64 v0, s[0:1], s16, v0
	v_or_b32_e32 v8, 0x50, v66
	v_addc_co_u32_e64 v1, s[0:1], v1, v11, s[0:1]
	v_mad_u64_u32 v[6:7], s[0:1], s12, v8, 0
	global_load_dword v15, v[0:1], off
	v_add_co_u32_e64 v0, s[0:1], s16, v0
	v_addc_co_u32_e64 v1, s[0:1], v1, v11, s[0:1]
	v_mad_u64_u32 v[7:8], s[0:1], s13, v8, v[7:8]
	global_load_dword v16, v[12:13], off offset:152
	global_load_dword v17, v[0:1], off
	global_load_dword v18, v[12:13], off offset:236
	v_lshlrev_b64 v[6:7], 2, v[6:7]
	v_or_b32_e32 v8, 0xa4, v66
	v_add_co_u32_e64 v6, s[0:1], v2, v6
	v_addc_co_u32_e64 v7, s[0:1], v3, v7, s[0:1]
	global_load_dword v19, v[6:7], off
	global_load_dword v20, v[12:13], off offset:320
	v_mad_u64_u32 v[6:7], s[0:1], s12, v8, 0
	s_mul_i32 s18, s13, 0xa8
	s_mul_hi_u32 s19, s12, 0xa8
	s_mul_i32 s17, s12, 0xa8
	s_add_i32 s18, s19, s18
	v_mad_u64_u32 v[7:8], s[0:1], s13, v8, v[7:8]
	v_mov_b32_e32 v25, s18
	v_add_co_u32_e64 v0, s[0:1], s17, v0
	v_addc_co_u32_e64 v1, s[0:1], v1, v25, s[0:1]
	global_load_dword v21, v[12:13], off offset:404
	global_load_dword v22, v[12:13], off offset:488
	;; [unrolled: 1-line block ×4, first 2 shown]
	global_load_dword v25, v[0:1], off
	v_add_co_u32_e64 v0, s[0:1], s16, v0
	v_addc_co_u32_e64 v1, s[0:1], v1, v11, s[0:1]
	global_load_dword v27, v[0:1], off
	v_add_co_u32_e64 v0, s[0:1], s16, v0
	v_lshlrev_b64 v[6:7], 2, v[6:7]
	v_addc_co_u32_e64 v1, s[0:1], v1, v11, s[0:1]
	v_add_co_u32_e64 v6, s[0:1], v2, v6
	v_addc_co_u32_e64 v7, s[0:1], v3, v7, s[0:1]
	global_load_dword v29, v[6:7], off
	global_load_dword v28, v[0:1], off
	v_mov_b32_e32 v26, s18
	v_add_co_u32_e64 v0, s[0:1], s17, v0
	v_addc_co_u32_e64 v1, s[0:1], v1, v26, s[0:1]
	s_waitcnt vmcnt(15)
	v_lshrrev_b32_e32 v6, 16, v9
	s_waitcnt vmcnt(14)
	v_mul_f16_sdwa v7, v10, v9 dst_sel:DWORD dst_unused:UNUSED_PAD src0_sel:WORD_1 src1_sel:DWORD
	v_mul_f16_sdwa v8, v10, v6 dst_sel:DWORD dst_unused:UNUSED_PAD src0_sel:WORD_1 src1_sel:DWORD
	v_fma_f16 v6, v10, v6, -v7
	v_fma_f16 v8, v10, v9, v8
	v_pack_b32_f16 v6, v8, v6
	s_waitcnt vmcnt(13)
	v_lshrrev_b32_e32 v7, 16, v15
	s_waitcnt vmcnt(12)
	v_mul_f16_sdwa v30, v16, v15 dst_sel:DWORD dst_unused:UNUSED_PAD src0_sel:WORD_1 src1_sel:DWORD
	v_mul_f16_sdwa v9, v16, v7 dst_sel:DWORD dst_unused:UNUSED_PAD src0_sel:WORD_1 src1_sel:DWORD
	v_fma_f16 v7, v16, v7, -v30
	s_waitcnt vmcnt(11)
	v_lshrrev_b32_e32 v10, 16, v17
	v_fma_f16 v8, v16, v15, v9
	s_waitcnt vmcnt(10)
	v_mul_f16_sdwa v30, v18, v17 dst_sel:DWORD dst_unused:UNUSED_PAD src0_sel:WORD_1 src1_sel:DWORD
	v_mul_f16_sdwa v9, v18, v10 dst_sel:DWORD dst_unused:UNUSED_PAD src0_sel:WORD_1 src1_sel:DWORD
	v_pack_b32_f16 v7, v8, v7
	v_fma_f16 v10, v18, v10, -v30
	v_fma_f16 v8, v18, v17, v9
	ds_write2_b32 v65, v6, v7 offset0:17 offset1:38
	s_waitcnt vmcnt(9)
	v_lshrrev_b32_e32 v7, 16, v19
	v_pack_b32_f16 v6, v8, v10
	s_waitcnt vmcnt(8)
	v_mul_f16_sdwa v8, v20, v19 dst_sel:DWORD dst_unused:UNUSED_PAD src0_sel:WORD_1 src1_sel:DWORD
	v_mul_f16_sdwa v9, v20, v7 dst_sel:DWORD dst_unused:UNUSED_PAD src0_sel:WORD_1 src1_sel:DWORD
	v_fma_f16 v7, v20, v7, -v8
	v_fma_f16 v8, v20, v19, v9
	v_pack_b32_f16 v7, v8, v7
	global_load_dword v9, v[0:1], off
	v_add_co_u32_e64 v0, s[0:1], s16, v0
	v_or_b32_e32 v8, 0xf8, v66
	ds_write2_b32 v65, v6, v7 offset0:59 offset1:80
	v_addc_co_u32_e64 v1, s[0:1], v1, v11, s[0:1]
	v_mad_u64_u32 v[6:7], s[0:1], s12, v8, 0
	global_load_dword v10, v[0:1], off
	global_load_dword v15, v[12:13], off offset:740
	global_load_dword v16, v[12:13], off offset:824
	v_mad_u64_u32 v[7:8], s[0:1], s13, v8, v[7:8]
	v_add_co_u32_e64 v0, s[0:1], s16, v0
	v_lshlrev_b64 v[6:7], 2, v[6:7]
	v_addc_co_u32_e64 v1, s[0:1], v1, v11, s[0:1]
	global_load_dword v17, v[0:1], off
	v_add_co_u32_e64 v6, s[0:1], v2, v6
	v_addc_co_u32_e64 v7, s[0:1], v3, v7, s[0:1]
	global_load_dword v18, v[6:7], off
	global_load_dword v19, v[12:13], off offset:908
	global_load_dword v20, v[12:13], off offset:992
	v_mov_b32_e32 v6, s18
	v_add_co_u32_e64 v0, s[0:1], s17, v0
	v_addc_co_u32_e64 v1, s[0:1], v1, v6, s[0:1]
	global_load_dword v26, v[0:1], off
	v_add_co_u32_e64 v0, s[0:1], s16, v0
	v_or_b32_e32 v8, 0x14c, v66
	v_addc_co_u32_e64 v1, s[0:1], v1, v11, s[0:1]
	v_mad_u64_u32 v[6:7], s[0:1], s12, v8, 0
	global_load_dword v30, v[12:13], off offset:1076
	global_load_dword v31, v[0:1], off
	global_load_dword v32, v[12:13], off offset:1160
	v_mad_u64_u32 v[7:8], s[0:1], s13, v8, v[7:8]
	v_add_co_u32_e64 v0, s[0:1], s16, v0
	v_addc_co_u32_e64 v1, s[0:1], v1, v11, s[0:1]
	global_load_dword v8, v[0:1], off
	global_load_dword v11, v[12:13], off offset:1244
	v_lshlrev_b64 v[6:7], 2, v[6:7]
	v_add_co_u32_e64 v2, s[0:1], v2, v6
	v_addc_co_u32_e64 v3, s[0:1], v3, v7, s[0:1]
	global_load_dword v6, v[2:3], off
	global_load_dword v7, v[12:13], off offset:1328
	v_mov_b32_e32 v2, s18
	v_add_co_u32_e64 v0, s[0:1], s17, v0
	v_addc_co_u32_e64 v1, s[0:1], v1, v2, s[0:1]
	global_load_dword v2, v[0:1], off
	global_load_dword v3, v[12:13], off offset:1412
	s_waitcnt vmcnt(21)
	v_lshrrev_b32_e32 v0, 16, v25
	v_mul_f16_sdwa v1, v21, v0 dst_sel:DWORD dst_unused:UNUSED_PAD src0_sel:WORD_1 src1_sel:DWORD
	v_fma_f16 v1, v21, v25, v1
	v_mul_f16_sdwa v25, v21, v25 dst_sel:DWORD dst_unused:UNUSED_PAD src0_sel:WORD_1 src1_sel:DWORD
	v_fma_f16 v0, v21, v0, -v25
	v_pack_b32_f16 v0, v1, v0
	s_waitcnt vmcnt(20)
	v_lshrrev_b32_e32 v1, 16, v27
	v_mul_f16_sdwa v21, v22, v1 dst_sel:DWORD dst_unused:UNUSED_PAD src0_sel:WORD_1 src1_sel:DWORD
	v_mul_f16_sdwa v25, v22, v27 dst_sel:DWORD dst_unused:UNUSED_PAD src0_sel:WORD_1 src1_sel:DWORD
	v_fma_f16 v21, v22, v27, v21
	v_fma_f16 v1, v22, v1, -v25
	v_pack_b32_f16 v1, v21, v1
	ds_write2_b32 v65, v0, v1 offset0:101 offset1:122
	s_waitcnt vmcnt(18)
	v_lshrrev_b32_e32 v0, 16, v28
	v_mul_f16_sdwa v1, v23, v0 dst_sel:DWORD dst_unused:UNUSED_PAD src0_sel:WORD_1 src1_sel:DWORD
	v_mul_f16_sdwa v21, v23, v28 dst_sel:DWORD dst_unused:UNUSED_PAD src0_sel:WORD_1 src1_sel:DWORD
	v_fma_f16 v1, v23, v28, v1
	v_fma_f16 v0, v23, v0, -v21
	v_pack_b32_f16 v0, v1, v0
	v_lshrrev_b32_e32 v1, 16, v29
	v_mul_f16_sdwa v21, v24, v1 dst_sel:DWORD dst_unused:UNUSED_PAD src0_sel:WORD_1 src1_sel:DWORD
	v_mul_f16_sdwa v22, v24, v29 dst_sel:DWORD dst_unused:UNUSED_PAD src0_sel:WORD_1 src1_sel:DWORD
	v_fma_f16 v21, v24, v29, v21
	v_fma_f16 v1, v24, v1, -v22
	v_pack_b32_f16 v1, v21, v1
	ds_write2_b32 v65, v0, v1 offset0:143 offset1:164
	s_waitcnt vmcnt(17)
	v_lshrrev_b32_e32 v0, 16, v9
	s_waitcnt vmcnt(15)
	v_mul_f16_sdwa v1, v15, v0 dst_sel:DWORD dst_unused:UNUSED_PAD src0_sel:WORD_1 src1_sel:DWORD
	v_fma_f16 v1, v15, v9, v1
	v_mul_f16_sdwa v9, v15, v9 dst_sel:DWORD dst_unused:UNUSED_PAD src0_sel:WORD_1 src1_sel:DWORD
	v_fma_f16 v0, v15, v0, -v9
	v_pack_b32_f16 v0, v1, v0
	v_lshrrev_b32_e32 v1, 16, v10
	s_waitcnt vmcnt(14)
	v_mul_f16_sdwa v9, v16, v1 dst_sel:DWORD dst_unused:UNUSED_PAD src0_sel:WORD_1 src1_sel:DWORD
	v_fma_f16 v9, v16, v10, v9
	v_mul_f16_sdwa v10, v16, v10 dst_sel:DWORD dst_unused:UNUSED_PAD src0_sel:WORD_1 src1_sel:DWORD
	v_fma_f16 v1, v16, v1, -v10
	v_pack_b32_f16 v1, v9, v1
	ds_write2_b32 v65, v0, v1 offset0:185 offset1:206
	s_waitcnt vmcnt(13)
	v_lshrrev_b32_e32 v0, 16, v17
	s_waitcnt vmcnt(11)
	v_mul_f16_sdwa v1, v19, v0 dst_sel:DWORD dst_unused:UNUSED_PAD src0_sel:WORD_1 src1_sel:DWORD
	v_mul_f16_sdwa v9, v19, v17 dst_sel:DWORD dst_unused:UNUSED_PAD src0_sel:WORD_1 src1_sel:DWORD
	v_fma_f16 v1, v19, v17, v1
	v_fma_f16 v0, v19, v0, -v9
	v_pack_b32_f16 v0, v1, v0
	v_lshrrev_b32_e32 v1, 16, v18
	s_waitcnt vmcnt(10)
	v_mul_f16_sdwa v9, v20, v1 dst_sel:DWORD dst_unused:UNUSED_PAD src0_sel:WORD_1 src1_sel:DWORD
	v_mul_f16_sdwa v10, v20, v18 dst_sel:DWORD dst_unused:UNUSED_PAD src0_sel:WORD_1 src1_sel:DWORD
	v_fma_f16 v9, v20, v18, v9
	v_fma_f16 v1, v20, v1, -v10
	v_pack_b32_f16 v1, v9, v1
	ds_write2_b32 v65, v0, v1 offset0:227 offset1:248
	s_waitcnt vmcnt(9)
	v_lshrrev_b32_e32 v0, 16, v26
	s_waitcnt vmcnt(8)
	v_mul_f16_sdwa v1, v30, v0 dst_sel:DWORD dst_unused:UNUSED_PAD src0_sel:WORD_1 src1_sel:DWORD
	v_mul_f16_sdwa v9, v30, v26 dst_sel:DWORD dst_unused:UNUSED_PAD src0_sel:WORD_1 src1_sel:DWORD
	v_fma_f16 v1, v30, v26, v1
	v_fma_f16 v0, v30, v0, -v9
	v_pack_b32_f16 v0, v1, v0
	s_waitcnt vmcnt(7)
	v_lshrrev_b32_e32 v1, 16, v31
	s_waitcnt vmcnt(6)
	v_mul_f16_sdwa v9, v32, v1 dst_sel:DWORD dst_unused:UNUSED_PAD src0_sel:WORD_1 src1_sel:DWORD
	v_mul_f16_sdwa v10, v32, v31 dst_sel:DWORD dst_unused:UNUSED_PAD src0_sel:WORD_1 src1_sel:DWORD
	v_fma_f16 v9, v32, v31, v9
	v_fma_f16 v1, v32, v1, -v10
	v_pack_b32_f16 v1, v9, v1
	ds_write2_b32 v5, v0, v1 offset0:13 offset1:34
	s_waitcnt vmcnt(5)
	v_lshrrev_b32_e32 v0, 16, v8
	s_waitcnt vmcnt(4)
	v_mul_f16_sdwa v1, v11, v0 dst_sel:DWORD dst_unused:UNUSED_PAD src0_sel:WORD_1 src1_sel:DWORD
	v_fma_f16 v1, v11, v8, v1
	v_mul_f16_sdwa v8, v11, v8 dst_sel:DWORD dst_unused:UNUSED_PAD src0_sel:WORD_1 src1_sel:DWORD
	v_fma_f16 v0, v11, v0, -v8
	v_pack_b32_f16 v0, v1, v0
	s_waitcnt vmcnt(3)
	v_lshrrev_b32_e32 v1, 16, v6
	s_waitcnt vmcnt(2)
	v_mul_f16_sdwa v8, v7, v1 dst_sel:DWORD dst_unused:UNUSED_PAD src0_sel:WORD_1 src1_sel:DWORD
	v_fma_f16 v8, v7, v6, v8
	v_mul_f16_sdwa v6, v7, v6 dst_sel:DWORD dst_unused:UNUSED_PAD src0_sel:WORD_1 src1_sel:DWORD
	v_fma_f16 v1, v7, v1, -v6
	v_pack_b32_f16 v1, v8, v1
	ds_write2_b32 v5, v0, v1 offset0:55 offset1:76
	s_waitcnt vmcnt(1)
	v_lshrrev_b32_e32 v0, 16, v2
	s_waitcnt vmcnt(0)
	v_mul_f16_sdwa v1, v3, v0 dst_sel:DWORD dst_unused:UNUSED_PAD src0_sel:WORD_1 src1_sel:DWORD
	v_fma_f16 v1, v3, v2, v1
	v_mul_f16_sdwa v2, v3, v2 dst_sel:DWORD dst_unused:UNUSED_PAD src0_sel:WORD_1 src1_sel:DWORD
	v_fma_f16 v0, v3, v0, -v2
	v_pack_b32_f16 v0, v1, v0
	ds_write_b32 v65, v0 offset:1412
.LBB0_3:
	s_or_b64 exec, exec, s[2:3]
	s_waitcnt lgkmcnt(0)
	s_barrier
	ds_read2_b32 v[27:28], v65 offset1:21
	ds_read2_b32 v[31:32], v65 offset0:42 offset1:63
	ds_read2_b32 v[35:36], v65 offset0:84 offset1:105
	;; [unrolled: 1-line block ×7, first 2 shown]
	ds_read_b32 v93, v65 offset:1344
	s_load_dwordx2 s[2:3], s[4:5], 0x8
	v_mov_b32_e32 v0, 0
                                        ; implicit-def: $vgpr3
                                        ; implicit-def: $vgpr6
                                        ; implicit-def: $vgpr5
                                        ; implicit-def: $vgpr23
                                        ; implicit-def: $vgpr9
                                        ; implicit-def: $vgpr25
                                        ; implicit-def: $vgpr11
                                        ; implicit-def: $vgpr47
	s_and_saveexec_b64 s[0:1], vcc
	s_cbranch_execz .LBB0_5
; %bb.4:
	ds_read2_b32 v[0:1], v65 offset0:17 offset1:38
	ds_read2_b32 v[10:11], v65 offset0:59 offset1:80
	;; [unrolled: 1-line block ×6, first 2 shown]
	v_add_u32_e32 v15, 0x400, v65
	ds_read2_b32 v[23:24], v15 offset0:13 offset1:34
	ds_read2_b32 v[25:26], v15 offset0:55 offset1:76
	ds_read_b32 v47, v65 offset:1412
.LBB0_5:
	s_or_b64 exec, exec, s[0:1]
	s_waitcnt lgkmcnt(0)
	v_pk_add_f16 v43, v1, v47 neg_lo:[0,1] neg_hi:[0,1]
	s_mov_b32 s19, 0xb5c8
	s_mov_b32 s27, 0xb964
	v_pk_add_f16 v52, v47, v1
	s_movk_i32 s18, 0x3b76
	v_mul_f16_sdwa v48, v43, s19 dst_sel:DWORD dst_unused:UNUSED_PAD src0_sel:WORD_1 src1_sel:DWORD
	s_movk_i32 s0, 0x39e9
	v_mul_f16_sdwa v49, v43, s27 dst_sel:DWORD dst_unused:UNUSED_PAD src0_sel:WORD_1 src1_sel:DWORD
	s_mov_b32 s21, 0xbbf7
	v_pk_add_f16 v87, v10, v26 neg_lo:[0,1] neg_hi:[0,1]
	v_fma_f16 v15, v52, s18, v48
	v_fma_f16 v16, v52, s0, v49
	s_mov_b32 s28, 0xbb29
	s_movk_i32 s12, 0x2de8
	s_mov_b32 s24, 0xba62
	v_pk_add_f16 v59, v26, v10
	v_mul_f16_sdwa v50, v87, s27 dst_sel:DWORD dst_unused:UNUSED_PAD src0_sel:WORD_1 src1_sel:DWORD
	v_mul_f16_sdwa v53, v87, s21 dst_sel:DWORD dst_unused:UNUSED_PAD src0_sel:WORD_1 src1_sel:DWORD
	v_pk_add_f16 v88, v11, v25 neg_lo:[0,1] neg_hi:[0,1]
	s_movk_i32 s5, 0x3722
	s_mov_b32 s13, 0xb8d2
	s_mov_b32 s20, 0xb1e1
	v_fma_f16 v19, v59, s0, v50
	v_fma_f16 v20, v59, s12, v53
	v_pk_add_f16 v62, v25, v11
	v_mul_f16_sdwa v54, v88, s28 dst_sel:DWORD dst_unused:UNUSED_PAD src0_sel:WORD_1 src1_sel:DWORD
	v_mul_f16_sdwa v56, v88, s24 dst_sel:DWORD dst_unused:UNUSED_PAD src0_sel:WORD_1 src1_sel:DWORD
	v_pk_add_f16 v89, v8, v24 neg_lo:[0,1] neg_hi:[0,1]
	v_add_f16_e32 v15, v15, v0
	v_add_f16_e32 v16, v16, v0
	s_mov_b32 s1, 0xbbb2
	s_mov_b32 s17, 0xbbdd
	s_movk_i32 s31, 0x3836
	v_fma_f16 v85, v62, s5, v54
	v_fma_f16 v94, v62, s13, v56
	v_pk_add_f16 v100, v24, v8
	v_mul_f16_sdwa v57, v89, s21 dst_sel:DWORD dst_unused:UNUSED_PAD src0_sel:WORD_1 src1_sel:DWORD
	v_mul_f16_sdwa v58, v89, s20 dst_sel:DWORD dst_unused:UNUSED_PAD src0_sel:WORD_1 src1_sel:DWORD
	v_pk_add_f16 v86, v9, v23 neg_lo:[0,1] neg_hi:[0,1]
	v_add_f16_e32 v15, v19, v15
	v_add_f16_e32 v16, v20, v16
	s_mov_b32 s4, 0xb461
	s_mov_b32 s16, 0xbacd
	s_movk_i32 s30, 0x3bb2
	v_fma_f16 v95, v100, s12, v57
	v_fma_f16 v96, v100, s17, v58
	v_pk_add_f16 v101, v23, v9
	v_mul_f16_sdwa v60, v86, s1 dst_sel:DWORD dst_unused:UNUSED_PAD src0_sel:WORD_1 src1_sel:DWORD
	v_mul_f16_sdwa v61, v86, s31 dst_sel:DWORD dst_unused:UNUSED_PAD src0_sel:WORD_1 src1_sel:DWORD
	v_pk_add_f16 v46, v4, v7 neg_lo:[0,1] neg_hi:[0,1]
	v_add_f16_e32 v15, v85, v15
	v_add_f16_e32 v16, v94, v16
	s_mov_b32 s22, 0xb836
	s_movk_i32 s23, 0x3b29
	v_fma_f16 v97, v101, s4, v60
	v_fma_f16 v98, v101, s16, v61
	v_pk_add_f16 v102, v7, v4
	v_mul_f16_sdwa v63, v46, s24 dst_sel:DWORD dst_unused:UNUSED_PAD src0_sel:WORD_1 src1_sel:DWORD
	v_mul_f16_sdwa v64, v46, s30 dst_sel:DWORD dst_unused:UNUSED_PAD src0_sel:WORD_1 src1_sel:DWORD
	v_pk_add_f16 v92, v5, v6 neg_lo:[0,1] neg_hi:[0,1]
	v_add_f16_e32 v15, v95, v15
	v_add_f16_e32 v16, v96, v16
	v_mul_f16_sdwa v51, v43, s28 dst_sel:DWORD dst_unused:UNUSED_PAD src0_sel:WORD_1 src1_sel:DWORD
	s_movk_i32 s26, 0x35c8
	v_fma_f16 v99, v102, s13, v63
	v_fma_f16 v107, v102, s4, v64
	v_pk_add_f16 v106, v6, v5
	v_mul_f16_sdwa v103, v92, s22 dst_sel:DWORD dst_unused:UNUSED_PAD src0_sel:WORD_1 src1_sel:DWORD
	v_mul_f16_sdwa v104, v92, s23 dst_sel:DWORD dst_unused:UNUSED_PAD src0_sel:WORD_1 src1_sel:DWORD
	v_add_f16_e32 v15, v97, v15
	v_add_f16_e32 v16, v98, v16
	v_pk_add_f16 v109, v2, v3 neg_lo:[0,1] neg_hi:[0,1]
	v_fma_f16 v17, v52, s5, v51
	v_mul_f16_sdwa v90, v43, s21 dst_sel:DWORD dst_unused:UNUSED_PAD src0_sel:WORD_1 src1_sel:DWORD
	v_mul_f16_sdwa v55, v87, s24 dst_sel:DWORD dst_unused:UNUSED_PAD src0_sel:WORD_1 src1_sel:DWORD
	s_movk_i32 s33, 0x31e1
	v_fma_f16 v19, v106, s16, v103
	v_fma_f16 v20, v106, s5, v104
	v_pk_add_f16 v108, v3, v2
	v_add_f16_e32 v15, v99, v15
	v_mul_f16_sdwa v105, v109, s20 dst_sel:DWORD dst_unused:UNUSED_PAD src0_sel:WORD_1 src1_sel:DWORD
	v_add_f16_e32 v16, v107, v16
	v_mul_f16_sdwa v107, v109, s26 dst_sel:DWORD dst_unused:UNUSED_PAD src0_sel:WORD_1 src1_sel:DWORD
	v_fma_f16 v18, v52, s12, v90
	v_fma_f16 v21, v59, s13, v55
	v_mul_f16_sdwa v91, v87, s20 dst_sel:DWORD dst_unused:UNUSED_PAD src0_sel:WORD_1 src1_sel:DWORD
	v_fma_f16 v85, v108, s17, v105
	v_add_f16_e32 v15, v19, v15
	v_add_f16_e32 v19, v20, v16
	v_fma_f16 v20, v108, s18, v107
	v_mul_f16_sdwa v110, v88, s33 dst_sel:DWORD dst_unused:UNUSED_PAD src0_sel:WORD_1 src1_sel:DWORD
	v_add_f16_e32 v17, v17, v0
	v_fma_f16 v22, v59, s17, v91
	v_add_f16_e32 v16, v85, v15
	v_add_f16_e32 v15, v20, v19
	v_fma_f16 v19, v62, s17, v110
	v_add_f16_e32 v17, v21, v17
	v_mul_f16_sdwa v98, v88, s30 dst_sel:DWORD dst_unused:UNUSED_PAD src0_sel:WORD_1 src1_sel:DWORD
	v_add_f16_e32 v18, v18, v0
	v_mul_f16_sdwa v111, v89, s30 dst_sel:DWORD dst_unused:UNUSED_PAD src0_sel:WORD_1 src1_sel:DWORD
	v_add_f16_e32 v18, v22, v18
	v_fma_f16 v20, v62, s4, v98
	v_add_f16_e32 v17, v19, v17
	v_fma_f16 v19, v100, s4, v111
	v_mul_f16_sdwa v97, v89, s26 dst_sel:DWORD dst_unused:UNUSED_PAD src0_sel:WORD_1 src1_sel:DWORD
	s_movk_i32 s25, 0x3964
	v_add_f16_e32 v18, v20, v18
	v_add_f16_e32 v17, v19, v17
	v_fma_f16 v19, v100, s18, v97
	v_mul_f16_sdwa v112, v86, s25 dst_sel:DWORD dst_unused:UNUSED_PAD src0_sel:WORD_1 src1_sel:DWORD
	v_add_f16_e32 v18, v19, v18
	v_fma_f16 v19, v101, s0, v112
	v_mul_f16_sdwa v96, v86, s28 dst_sel:DWORD dst_unused:UNUSED_PAD src0_sel:WORD_1 src1_sel:DWORD
	;; [unrolled: 3-line block ×5, first 2 shown]
	s_movk_i32 s29, 0x3a62
	v_add_f16_e32 v18, v19, v18
	v_fma_f16 v19, v106, s12, v114
	v_mul_f16_sdwa v94, v92, s29 dst_sel:DWORD dst_unused:UNUSED_PAD src0_sel:WORD_1 src1_sel:DWORD
	v_add_f16_e32 v17, v19, v17
	v_fma_f16 v19, v106, s13, v94
	v_mul_f16_sdwa v115, v109, s22 dst_sel:DWORD dst_unused:UNUSED_PAD src0_sel:WORD_1 src1_sel:DWORD
	;; [unrolled: 3-line block ×4, first 2 shown]
	v_add_f16_e32 v17, v17, v19
	v_fma_f16 v19, v52, s4, -v21
	v_mul_f16_sdwa v22, v87, s31 dst_sel:DWORD dst_unused:UNUSED_PAD src0_sel:WORD_1 src1_sel:DWORD
	v_add_f16_e32 v19, v19, v0
	v_fma_f16 v20, v59, s16, -v22
	v_mul_f16_sdwa v85, v43, s24 dst_sel:DWORD dst_unused:UNUSED_PAD src0_sel:WORD_1 src1_sel:DWORD
	;; [unrolled: 3-line block ×3, first 2 shown]
	v_add_f16_e32 v20, v20, v0
	v_fma_f16 v117, v59, s4, -v99
	v_add_f16_e32 v20, v117, v20
	v_mul_f16_sdwa v117, v88, s25 dst_sel:DWORD dst_unused:UNUSED_PAD src0_sel:WORD_1 src1_sel:DWORD
	v_fma_f16 v118, v62, s0, -v117
	v_add_f16_e32 v19, v118, v19
	v_mul_f16_sdwa v118, v88, s19 dst_sel:DWORD dst_unused:UNUSED_PAD src0_sel:WORD_1 src1_sel:DWORD
	;; [unrolled: 3-line block ×5, first 2 shown]
	v_fma_f16 v122, v101, s17, -v121
	s_movk_i32 s35, 0x3bf7
	v_fma_f16 v21, v52, s4, v21
	v_add_f16_e32 v19, v122, v19
	v_mul_f16_sdwa v122, v86, s35 dst_sel:DWORD dst_unused:UNUSED_PAD src0_sel:WORD_1 src1_sel:DWORD
	v_fma_f16 v22, v59, s16, v22
	v_add_f16_e32 v21, v21, v0
	v_fma_f16 v123, v101, s12, -v122
	v_add_f16_e32 v21, v22, v21
	v_fma_f16 v22, v52, s13, v85
	v_add_f16_e32 v20, v123, v20
	v_mul_f16_sdwa v123, v46, s35 dst_sel:DWORD dst_unused:UNUSED_PAD src0_sel:WORD_1 src1_sel:DWORD
	v_fma_f16 v85, v59, s4, v99
	v_add_f16_e32 v22, v22, v0
	v_fma_f16 v124, v102, s12, -v123
	v_add_f16_e32 v22, v85, v22
	v_fma_f16 v85, v62, s0, v117
	v_add_f16_e32 v19, v124, v19
	v_mul_f16_sdwa v124, v46, s27 dst_sel:DWORD dst_unused:UNUSED_PAD src0_sel:WORD_1 src1_sel:DWORD
	v_add_f16_e32 v21, v85, v21
	v_fma_f16 v85, v62, s18, v118
	v_fma_f16 v125, v102, s0, -v124
	v_add_f16_e32 v22, v85, v22
	v_fma_f16 v85, v100, s5, v119
	v_add_f16_e32 v20, v125, v20
	v_mul_f16_sdwa v125, v92, s19 dst_sel:DWORD dst_unused:UNUSED_PAD src0_sel:WORD_1 src1_sel:DWORD
	v_add_f16_e32 v21, v85, v21
	v_fma_f16 v85, v100, s16, v120
	;; [unrolled: 7-line block ×5, first 2 shown]
	v_add_f16_e32 v85, v85, v22
	v_fma_f16 v22, v108, s13, v127
	v_fma_f16 v99, v108, s5, v128
	v_add_f16_e32 v22, v22, v21
	v_add_f16_e32 v21, v99, v85
	v_pk_add_f16 v85, v27, v28
	v_pk_add_f16 v85, v85, v31
	;; [unrolled: 1-line block ×8, first 2 shown]
	v_pk_add_f16 v133, v41, v40 neg_lo:[0,1] neg_hi:[0,1]
	v_pk_add_f16 v41, v39, v42
	v_pk_add_f16 v144, v42, v39 neg_lo:[0,1] neg_hi:[0,1]
	v_pk_add_f16 v42, v85, v29
	v_pk_add_f16 v42, v42, v30
	;; [unrolled: 1-line block ×5, first 2 shown]
	v_pk_add_f16 v147, v35, v38 neg_lo:[0,1] neg_hi:[0,1]
	v_pk_add_f16 v35, v37, v36
	v_pk_add_f16 v146, v36, v37 neg_lo:[0,1] neg_hi:[0,1]
	v_pk_add_f16 v36, v40, v37
	;; [unrolled: 2-line block ×3, first 2 shown]
	v_pk_add_f16 v142, v93, v28
	v_mul_f16_sdwa v153, v152, s19 dst_sel:DWORD dst_unused:UNUSED_PAD src0_sel:WORD_1 src1_sel:DWORD
	v_pk_add_f16 v36, v34, v31
	v_pk_add_f16 v151, v31, v34 neg_lo:[0,1] neg_hi:[0,1]
	v_pk_add_f16 v31, v33, v32
	v_pk_add_f16 v150, v32, v33 neg_lo:[0,1] neg_hi:[0,1]
	v_pk_add_f16 v32, v37, v33
	v_fma_f16 v28, v142, s18, -v153
	v_pk_add_f16 v141, v32, v34
	v_add_f16_e32 v32, v27, v28
	v_mul_f16_sdwa v28, v151, s27 dst_sel:DWORD dst_unused:UNUSED_PAD src0_sel:WORD_1 src1_sel:DWORD
	v_fma_f16 v33, v36, s0, -v28
	s_mov_b32 s36, 0x3b7639e9
	v_add_f16_e32 v33, v33, v32
	s_mov_b32 s37, 0xb964b5c8
	v_pk_mul_f16 v32, v142, s36
	s_mov_b32 s34, 0xffff
	v_pk_fma_f16 v154, v152, s37, v32 op_sel:[0,0,1] op_sel_hi:[1,1,0] neg_lo:[1,0,0] neg_hi:[1,0,0]
	v_pk_fma_f16 v155, v152, s37, v32 op_sel:[0,0,1] op_sel_hi:[1,1,0]
	s_mov_b32 s36, 0x39e92de8
	v_bfi_b32 v32, s34, v155, v154
	s_mov_b32 s37, 0xbbf7b964
	v_pk_mul_f16 v37, v36, s36
	v_pk_add_f16 v34, v27, v32 op_sel:[1,0] op_sel_hi:[0,1]
	v_pk_fma_f16 v32, v151, s37, v37 op_sel:[0,0,1] op_sel_hi:[1,1,0] neg_lo:[1,0,0] neg_hi:[1,0,0]
	v_pk_fma_f16 v99, v151, s37, v37 op_sel:[0,0,1] op_sel_hi:[1,1,0]
	v_bfi_b32 v37, s34, v99, v32
	v_lshrrev_b32_e32 v156, 16, v142
	v_mul_f16_e32 v157, 0xb964, v152
	v_pk_add_f16 v37, v37, v34
	v_fma_f16 v34, v156, s0, v157
	v_lshrrev_b32_e32 v123, 16, v36
	v_mul_f16_e32 v124, 0xbbf7, v151
	v_add_f16_sdwa v34, v27, v34 dst_sel:DWORD dst_unused:UNUSED_PAD src0_sel:WORD_1 src1_sel:DWORD
	v_fma_f16 v38, v123, s12, v124
	v_add_f16_e32 v38, v38, v34
	v_mul_f16_sdwa v34, v150, s28 dst_sel:DWORD dst_unused:UNUSED_PAD src0_sel:WORD_1 src1_sel:DWORD
	s_mov_b32 s36, 0x3722b8d2
	v_fma_f16 v40, v31, s5, -v34
	s_mov_b32 s37, 0xba62bb29
	v_pk_mul_f16 v42, v31, s36
	v_add_f16_e32 v40, v40, v33
	v_pk_fma_f16 v33, v150, s37, v42 op_sel:[0,0,1] op_sel_hi:[1,1,0] neg_lo:[1,0,0] neg_hi:[1,0,0]
	v_pk_fma_f16 v126, v150, s37, v42 op_sel:[0,0,1] op_sel_hi:[1,1,0]
	v_bfi_b32 v42, s34, v126, v33
	v_lshrrev_b32_e32 v125, 16, v31
	v_mul_f16_e32 v127, 0xba62, v150
	v_pk_add_f16 v42, v42, v37
	v_fma_f16 v37, v125, s13, v127
	v_add_f16_e32 v85, v37, v38
	v_mul_f16_sdwa v38, v147, s21 dst_sel:DWORD dst_unused:UNUSED_PAD src0_sel:WORD_1 src1_sel:DWORD
	s_mov_b32 s36, 0x2de8bbdd
	v_fma_f16 v129, v108, s5, -v128
	v_fma_f16 v37, v39, s12, -v38
	s_mov_b32 s37, 0xb1e1bbf7
	v_pk_mul_f16 v118, v39, s36
	v_add_f16_e32 v20, v129, v20
	v_add_f16_e32 v40, v37, v40
	v_pk_fma_f16 v37, v147, s37, v118 op_sel:[0,0,1] op_sel_hi:[1,1,0] neg_lo:[1,0,0] neg_hi:[1,0,0]
	v_pk_fma_f16 v129, v147, s37, v118 op_sel:[0,0,1] op_sel_hi:[1,1,0]
	v_bfi_b32 v118, s34, v129, v37
	v_lshrrev_b32_e32 v128, 16, v39
	v_mul_f16_e32 v130, 0xb1e1, v147
	v_pk_add_f16 v118, v118, v42
	v_fma_f16 v42, v128, s17, v130
	v_add_f16_e32 v85, v42, v85
	v_mul_f16_sdwa v42, v146, s1 dst_sel:DWORD dst_unused:UNUSED_PAD src0_sel:WORD_1 src1_sel:DWORD
	v_fma_f16 v119, v35, s4, -v42
	s_mov_b32 s36, 0xb461bacd
	v_add_f16_e32 v120, v119, v40
	s_mov_b32 s37, 0x3836bbb2
	v_pk_mul_f16 v119, v35, s36
	v_pk_fma_f16 v40, v146, s37, v119 op_sel:[0,0,1] op_sel_hi:[1,1,0] neg_lo:[1,0,0] neg_hi:[1,0,0]
	v_pk_fma_f16 v132, v146, s37, v119 op_sel:[0,0,1] op_sel_hi:[1,1,0]
	v_bfi_b32 v119, s34, v132, v40
	v_lshrrev_b32_e32 v131, 16, v35
	v_mul_f16_e32 v135, 0x3836, v146
	v_pk_add_f16 v121, v119, v118
	v_fma_f16 v118, v131, s16, v135
	v_mul_f16_sdwa v119, v133, s24 dst_sel:DWORD dst_unused:UNUSED_PAD src0_sel:WORD_1 src1_sel:DWORD
	v_add_f16_e32 v85, v118, v85
	v_fma_f16 v118, v117, s13, -v119
	s_mov_b32 s36, 0xb8d2b461
	v_add_f16_e32 v122, v118, v120
	s_mov_b32 s37, 0x3bb2ba62
	v_pk_mul_f16 v120, v117, s36
	v_pk_fma_f16 v118, v133, s37, v120 op_sel:[0,0,1] op_sel_hi:[1,1,0] neg_lo:[1,0,0] neg_hi:[1,0,0]
	v_pk_fma_f16 v137, v133, s37, v120 op_sel:[0,0,1] op_sel_hi:[1,1,0]
	v_bfi_b32 v120, s34, v137, v118
	v_lshrrev_b32_e32 v136, 16, v117
	v_mul_f16_e32 v138, 0x3bb2, v133
	v_pk_add_f16 v139, v120, v121
	v_fma_f16 v120, v136, s4, v138
	v_add_f16_e32 v85, v120, v85
	v_mul_f16_sdwa v120, v144, s22 dst_sel:DWORD dst_unused:UNUSED_PAD src0_sel:WORD_1 src1_sel:DWORD
	v_fma_f16 v121, v41, s16, -v120
	s_mov_b32 s36, 0xbacd3722
	v_add_f16_e32 v145, v121, v122
	s_mov_b32 s37, 0x3b29b836
	v_pk_mul_f16 v122, v41, s36
	v_pk_fma_f16 v121, v144, s37, v122 op_sel:[0,0,1] op_sel_hi:[1,1,0] neg_lo:[1,0,0] neg_hi:[1,0,0]
	v_pk_fma_f16 v134, v144, s37, v122 op_sel:[0,0,1] op_sel_hi:[1,1,0]
	v_bfi_b32 v122, s34, v134, v121
	v_pk_add_f16 v148, v122, v139
	v_lshrrev_b32_e32 v139, 16, v41
	v_mul_f16_e32 v140, 0x3b29, v144
	v_fma_f16 v122, v139, s5, v140
	v_pk_add_f16 v143, v29, v30 neg_lo:[0,1] neg_hi:[0,1]
	v_add_f16_e32 v85, v122, v85
	v_pk_add_f16 v122, v30, v29
	v_mul_f16_sdwa v29, v143, s20 dst_sel:DWORD dst_unused:UNUSED_PAD src0_sel:WORD_1 src1_sel:DWORD
	v_fma_f16 v30, v122, s17, -v29
	s_mov_b32 s37, 0xbbdd3b76
	v_add_f16_e32 v158, v30, v145
	s_mov_b32 s36, 0x35c8b1e1
	v_pk_mul_f16 v145, v122, s37
	v_pk_fma_f16 v30, v143, s36, v145 op_sel:[0,0,1] op_sel_hi:[1,1,0] neg_lo:[1,0,0] neg_hi:[1,0,0]
	v_pk_fma_f16 v149, v143, s36, v145 op_sel:[0,0,1] op_sel_hi:[1,1,0]
	v_bfi_b32 v149, s34, v149, v30
	v_pk_add_f16 v159, v149, v148
	v_lshrrev_b32_e32 v148, 16, v122
	v_mul_f16_e32 v149, 0x35c8, v143
	v_fma_f16 v160, v148, s18, v149
	v_add_f16_e32 v85, v160, v85
	v_alignbit_b32 v160, v85, v159, 16
	v_mul_lo_u16_e32 v85, 17, v66
	v_pack_b32_f16 v158, v158, v159
	v_lshl_add_u32 v85, v85, 2, v84
	s_barrier
	ds_write2_b32 v85, v158, v160 offset0:1 offset1:2
	v_mul_f16_sdwa v158, v152, s28 dst_sel:DWORD dst_unused:UNUSED_PAD src0_sel:WORD_1 src1_sel:DWORD
	v_fma_f16 v159, v142, s5, -v158
	v_mul_f16_sdwa v160, v151, s24 dst_sel:DWORD dst_unused:UNUSED_PAD src0_sel:WORD_1 src1_sel:DWORD
	v_add_f16_e32 v159, v27, v159
	v_fma_f16 v161, v36, s13, -v160
	v_add_f16_e32 v159, v161, v159
	v_mul_f16_e32 v161, 0xbb29, v152
	v_fma_f16 v162, v156, s5, v161
	v_mul_f16_e32 v163, 0xba62, v151
	v_add_f16_sdwa v162, v27, v162 dst_sel:DWORD dst_unused:UNUSED_PAD src0_sel:WORD_1 src1_sel:DWORD
	v_fma_f16 v164, v123, s13, v163
	v_add_f16_e32 v162, v164, v162
	v_mul_f16_sdwa v164, v152, s21 dst_sel:DWORD dst_unused:UNUSED_PAD src0_sel:WORD_1 src1_sel:DWORD
	v_fma_f16 v165, v142, s12, -v164
	v_mul_f16_sdwa v166, v151, s20 dst_sel:DWORD dst_unused:UNUSED_PAD src0_sel:WORD_1 src1_sel:DWORD
	v_add_f16_e32 v165, v27, v165
	v_fma_f16 v167, v36, s17, -v166
	v_add_f16_e32 v165, v167, v165
	v_mul_f16_e32 v167, 0xbbf7, v152
	v_fma_f16 v168, v156, s12, v167
	v_mul_f16_e32 v169, 0xb1e1, v151
	v_add_f16_sdwa v168, v27, v168 dst_sel:DWORD dst_unused:UNUSED_PAD src0_sel:WORD_1 src1_sel:DWORD
	v_fma_f16 v170, v123, s17, v169
	v_add_f16_e32 v168, v170, v168
	v_mul_f16_sdwa v170, v150, s33 dst_sel:DWORD dst_unused:UNUSED_PAD src0_sel:WORD_1 src1_sel:DWORD
	v_fma_f16 v171, v31, s17, -v170
	v_add_f16_e32 v159, v171, v159
	v_mul_f16_e32 v171, 0x31e1, v150
	v_fma_f16 v172, v125, s17, v171
	v_add_f16_e32 v162, v172, v162
	v_mul_f16_sdwa v172, v150, s30 dst_sel:DWORD dst_unused:UNUSED_PAD src0_sel:WORD_1 src1_sel:DWORD
	v_fma_f16 v173, v31, s4, -v172
	v_add_f16_e32 v165, v173, v165
	v_mul_f16_e32 v173, 0x3bb2, v150
	;; [unrolled: 6-line block ×12, first 2 shown]
	v_fma_f16 v194, v148, s0, v193
	v_add_f16_e32 v168, v194, v168
	v_pack_b32_f16 v165, v165, v168
	v_pack_b32_f16 v159, v159, v162
	ds_write2_b32 v85, v159, v165 offset0:3 offset1:4
	v_mul_f16_sdwa v159, v152, s1 dst_sel:DWORD dst_unused:UNUSED_PAD src0_sel:WORD_1 src1_sel:DWORD
	v_fma_f16 v162, v142, s4, -v159
	v_mul_f16_sdwa v165, v151, s31 dst_sel:DWORD dst_unused:UNUSED_PAD src0_sel:WORD_1 src1_sel:DWORD
	v_add_f16_e32 v162, v27, v162
	v_fma_f16 v168, v36, s16, -v165
	v_add_f16_e32 v162, v168, v162
	v_mul_f16_e32 v168, 0xbbb2, v152
	v_fma_f16 v194, v156, s4, v168
	v_mul_f16_e32 v195, 0x3836, v151
	v_add_f16_sdwa v194, v27, v194 dst_sel:DWORD dst_unused:UNUSED_PAD src0_sel:WORD_1 src1_sel:DWORD
	v_fma_f16 v196, v123, s16, v195
	v_add_f16_e32 v194, v196, v194
	v_mul_f16_sdwa v196, v152, s24 dst_sel:DWORD dst_unused:UNUSED_PAD src0_sel:WORD_1 src1_sel:DWORD
	v_fma_f16 v197, v142, s13, -v196
	v_mul_f16_sdwa v198, v151, s30 dst_sel:DWORD dst_unused:UNUSED_PAD src0_sel:WORD_1 src1_sel:DWORD
	v_add_f16_e32 v197, v27, v197
	v_fma_f16 v199, v36, s4, -v198
	v_add_f16_e32 v197, v199, v197
	v_mul_f16_e32 v199, 0xba62, v152
	v_fma_f16 v200, v156, s13, v199
	v_mul_f16_e32 v201, 0x3bb2, v151
	v_add_f16_sdwa v200, v27, v200 dst_sel:DWORD dst_unused:UNUSED_PAD src0_sel:WORD_1 src1_sel:DWORD
	v_fma_f16 v202, v123, s4, v201
	v_add_f16_e32 v200, v202, v200
	v_mul_f16_sdwa v202, v150, s25 dst_sel:DWORD dst_unused:UNUSED_PAD src0_sel:WORD_1 src1_sel:DWORD
	v_fma_f16 v203, v31, s0, -v202
	v_add_f16_e32 v162, v203, v162
	v_mul_f16_e32 v203, 0x3964, v150
	v_fma_f16 v204, v125, s0, v203
	v_add_f16_e32 v194, v204, v194
	v_mul_f16_sdwa v204, v150, s19 dst_sel:DWORD dst_unused:UNUSED_PAD src0_sel:WORD_1 src1_sel:DWORD
	v_fma_f16 v205, v31, s18, -v204
	v_add_f16_e32 v197, v205, v197
	v_mul_f16_e32 v205, 0xb5c8, v150
	;; [unrolled: 6-line block ×12, first 2 shown]
	v_fma_f16 v226, v148, s5, v225
	v_add_f16_e32 v200, v226, v200
	v_pack_b32_f16 v197, v197, v200
	v_pack_b32_f16 v162, v162, v194
	v_pk_add_f16 v93, v141, v93
	v_mul_f16_sdwa v141, v152, s22 dst_sel:DWORD dst_unused:UNUSED_PAD src0_sel:WORD_1 src1_sel:DWORD
	ds_write2_b32 v85, v162, v197 offset0:5 offset1:6
	v_fma_f16 v162, v142, s16, -v141
	v_mul_f16_sdwa v194, v151, s23 dst_sel:DWORD dst_unused:UNUSED_PAD src0_sel:WORD_1 src1_sel:DWORD
	v_add_f16_e32 v162, v27, v162
	v_fma_f16 v197, v36, s5, -v194
	v_add_f16_e32 v162, v197, v162
	v_mul_f16_e32 v197, 0xb836, v152
	v_fma_f16 v200, v156, s16, v197
	v_mul_f16_e32 v226, 0x3b29, v151
	v_add_f16_sdwa v200, v27, v200 dst_sel:DWORD dst_unused:UNUSED_PAD src0_sel:WORD_1 src1_sel:DWORD
	v_fma_f16 v227, v123, s5, v226
	v_add_f16_e32 v200, v227, v200
	v_mul_f16_sdwa v227, v150, s21 dst_sel:DWORD dst_unused:UNUSED_PAD src0_sel:WORD_1 src1_sel:DWORD
	v_fma_f16 v228, v31, s12, -v227
	v_add_f16_e32 v162, v228, v162
	v_mul_f16_e32 v228, 0xbbf7, v150
	v_fma_f16 v229, v125, s12, v228
	v_add_f16_e32 v200, v229, v200
	v_mul_f16_sdwa v229, v147, s29 dst_sel:DWORD dst_unused:UNUSED_PAD src0_sel:WORD_1 src1_sel:DWORD
	v_fma_f16 v230, v39, s13, -v229
	v_add_f16_e32 v162, v230, v162
	v_mul_f16_e32 v230, 0x3a62, v147
	;; [unrolled: 6-line block ×6, first 2 shown]
	v_fma_f16 v239, v148, s4, v238
	v_add_f16_e32 v200, v239, v200
	v_pack_b32_f16 v162, v162, v200
	ds_write2_b32 v85, v93, v162 offset1:7
	v_fma_f16 v162, v156, s4, -v168
	v_fma_f16 v168, v142, s13, v196
	v_fma_f16 v196, v142, s16, v141
	v_pk_mul_f16 v141, v142, s17 op_sel_hi:[1,0]
	v_fma_f16 v93, v156, s0, -v157
	v_fma_f16 v157, v156, s5, -v161
	;; [unrolled: 1-line block ×5, first 2 shown]
	v_fma_f16 v153, v142, s18, v153
	v_fma_f16 v158, v142, s5, v158
	;; [unrolled: 1-line block ×4, first 2 shown]
	v_pk_fma_f16 v197, v152, s20, v141 op_sel:[0,0,1] op_sel_hi:[1,0,0] neg_lo:[1,0,0] neg_hi:[1,0,0]
	v_pk_fma_f16 v152, v152, s20, v141 op_sel:[0,0,1] op_sel_hi:[1,0,0]
	v_add_f16_e32 v141, v27, v153
	v_pk_add_f16 v153, v27, v155 op_sel:[1,0] op_sel_hi:[0,1]
	v_add_f16_sdwa v93, v27, v93 dst_sel:DWORD dst_unused:UNUSED_PAD src0_sel:WORD_1 src1_sel:DWORD
	v_add_f16_e32 v155, v27, v158
	v_add_f16_sdwa v157, v27, v157 dst_sel:DWORD dst_unused:UNUSED_PAD src0_sel:WORD_1 src1_sel:DWORD
	v_add_f16_e32 v158, v27, v164
	;; [unrolled: 2-line block ×5, first 2 shown]
	v_add_f16_sdwa v156, v27, v156 dst_sel:DWORD dst_unused:UNUSED_PAD src0_sel:WORD_1 src1_sel:DWORD
	v_add_f16_sdwa v142, v27, v154 dst_sel:DWORD dst_unused:UNUSED_PAD src0_sel:WORD_1 src1_sel:DWORD
	v_pk_add_f16 v154, v27, v197 op_sel:[1,0] op_sel_hi:[0,1]
	v_pk_add_f16 v27, v27, v152 op_sel:[1,0] op_sel_hi:[0,1]
	v_pk_mul_f16 v152, v36, s18 op_sel_hi:[1,0]
	v_pk_fma_f16 v196, v151, s26, v152 op_sel:[0,0,1] op_sel_hi:[1,0,0] neg_lo:[1,0,0] neg_hi:[1,0,0]
	v_pk_fma_f16 v151, v151, s26, v152 op_sel:[0,0,1] op_sel_hi:[1,0,0]
	v_pk_add_f16 v27, v151, v27
	v_pk_mul_f16 v151, v31, s16 op_sel_hi:[1,0]
	v_pk_fma_f16 v152, v150, s22, v151 op_sel:[0,0,1] op_sel_hi:[1,0,0] neg_lo:[1,0,0] neg_hi:[1,0,0]
	v_pk_fma_f16 v150, v150, s22, v151 op_sel:[0,0,1] op_sel_hi:[1,0,0]
	v_pk_add_f16 v27, v150, v27
	;; [unrolled: 4-line block ×4, first 2 shown]
	v_pk_add_f16 v27, v146, v27
	v_pk_mul_f16 v146, v117, s5 op_sel_hi:[1,0]
	v_pk_add_f16 v152, v152, v154
	v_pk_fma_f16 v147, v133, s23, v146 op_sel:[0,0,1] op_sel_hi:[1,0,0] neg_lo:[1,0,0] neg_hi:[1,0,0]
	v_pk_fma_f16 v133, v133, s23, v146 op_sel:[0,0,1] op_sel_hi:[1,0,0]
	v_pk_add_f16 v151, v151, v152
	v_pk_add_f16 v27, v133, v27
	v_pk_mul_f16 v133, v41, s4 op_sel_hi:[1,0]
	v_pk_add_f16 v150, v150, v151
	v_pk_fma_f16 v146, v144, s1, v133 op_sel:[0,0,1] op_sel_hi:[1,0,0] neg_lo:[1,0,0] neg_hi:[1,0,0]
	v_pk_fma_f16 v133, v144, s1, v133 op_sel:[0,0,1] op_sel_hi:[1,0,0]
	v_pk_add_f16 v147, v147, v150
	;; [unrolled: 6-line block ×3, first 2 shown]
	v_pk_add_f16 v27, v133, v27
	v_alignbit_b32 v133, v144, v27, 16
	v_alignbit_b32 v27, v27, v144, 16
	ds_write2_b32 v85, v27, v133 offset0:8 offset1:9
	v_fma_f16 v27, v36, s4, v198
	v_add_f16_e32 v27, v27, v164
	v_fma_f16 v133, v123, s4, -v201
	v_fma_f16 v147, v31, s18, v204
	v_add_f16_e32 v133, v133, v167
	v_fma_f16 v144, v36, s5, v194
	v_add_f16_e32 v27, v147, v27
	v_fma_f16 v147, v125, s18, -v205
	v_add_f16_e32 v144, v144, v168
	v_fma_f16 v146, v123, s5, -v226
	v_add_f16_e32 v133, v147, v133
	v_fma_f16 v147, v31, s12, v227
	v_add_f16_e32 v146, v146, v156
	v_add_f16_e32 v144, v147, v144
	v_fma_f16 v147, v125, s12, -v228
	v_add_f16_e32 v146, v147, v146
	v_fma_f16 v147, v39, s16, v208
	v_add_f16_e32 v27, v147, v27
	v_fma_f16 v147, v128, s16, -v209
	v_add_f16_e32 v133, v147, v133
	v_fma_f16 v147, v39, s13, v229
	;; [unrolled: 4-line block ×10, first 2 shown]
	v_add_f16_e32 v144, v147, v144
	v_fma_f16 v147, v148, s4, -v238
	v_add_f16_e32 v146, v147, v146
	v_pack_b32_f16 v27, v27, v133
	v_pack_b32_f16 v133, v144, v146
	ds_write2_b32 v85, v133, v27 offset0:10 offset1:11
	v_fma_f16 v27, v36, s17, v166
	v_add_f16_e32 v27, v27, v158
	v_fma_f16 v133, v123, s17, -v169
	v_fma_f16 v147, v31, s4, v172
	v_add_f16_e32 v133, v133, v161
	v_fma_f16 v144, v36, s16, v165
	v_add_f16_e32 v27, v147, v27
	v_fma_f16 v147, v125, s4, -v173
	v_add_f16_e32 v144, v144, v159
	v_fma_f16 v146, v123, s16, -v195
	v_add_f16_e32 v133, v147, v133
	v_fma_f16 v147, v31, s0, v202
	v_add_f16_e32 v146, v146, v162
	v_add_f16_e32 v144, v147, v144
	v_fma_f16 v147, v125, s0, -v203
	v_add_f16_e32 v146, v147, v146
	v_fma_f16 v147, v39, s18, v176
	v_add_f16_e32 v27, v147, v27
	v_fma_f16 v147, v128, s18, -v177
	v_add_f16_e32 v133, v147, v133
	v_fma_f16 v147, v39, s5, v206
	;; [unrolled: 4-line block ×10, first 2 shown]
	v_add_f16_e32 v144, v147, v144
	v_fma_f16 v147, v148, s13, -v223
	v_add_f16_e32 v146, v147, v146
	v_pack_b32_f16 v27, v27, v133
	v_pack_b32_f16 v133, v144, v146
	ds_write2_b32 v85, v133, v27 offset0:12 offset1:13
	v_pk_add_f16 v27, v99, v153
	v_fma_f16 v99, v123, s12, -v124
	v_add_f16_e32 v93, v99, v93
	v_fma_f16 v99, v36, s13, v160
	v_fma_f16 v124, v125, s13, -v127
	v_add_f16_e32 v99, v99, v155
	v_fma_f16 v123, v123, s13, -v163
	v_add_f16_e32 v93, v124, v93
	v_fma_f16 v124, v31, s17, v170
	v_add_f16_e32 v123, v123, v157
	v_add_f16_e32 v99, v124, v99
	v_fma_f16 v124, v125, s17, -v171
	v_add_f16_e32 v123, v124, v123
	v_fma_f16 v124, v128, s17, -v130
	v_add_f16_e32 v93, v124, v93
	v_fma_f16 v124, v39, s4, v174
	v_add_f16_e32 v99, v124, v99
	v_fma_f16 v124, v128, s4, -v175
	v_add_f16_e32 v123, v124, v123
	v_fma_f16 v124, v131, s16, -v135
	v_add_f16_e32 v93, v124, v93
	v_fma_f16 v124, v35, s0, v178
	;; [unrolled: 6-line block ×4, first 2 shown]
	v_fma_f16 v125, v148, s18, -v149
	v_pk_add_f16 v27, v126, v27
	v_add_f16_e32 v99, v124, v99
	v_add_f16_e32 v93, v125, v93
	v_fma_f16 v125, v122, s16, v190
	v_pk_add_f16 v27, v129, v27
	v_fma_f16 v124, v139, s12, -v187
	v_add_f16_e32 v99, v125, v99
	v_pk_mul_f16 v125, v143, s36
	v_pk_add_f16 v27, v132, v27
	v_pack_b32_f16 v124, v124, v145
	v_bfi_b32 v123, s34, v123, v125
	v_pk_add_f16 v27, v137, v27
	v_pk_add_f16 v123, v124, v123
	v_mul_f16_e32 v124, 0xb836, v143
	v_bfi_b32 v124, s34, v124, v27
	v_pk_add_f16 v124, v191, v124 neg_lo:[0,1] neg_hi:[0,1]
	v_pk_add_f16 v27, v134, v27
	v_bfi_b32 v27, s34, v124, v27
	v_pk_add_f16 v27, v27, v123
	v_alignbit_b32 v93, v93, v27, 16
	v_pack_b32_f16 v27, v99, v27
	ds_write2_b32 v85, v27, v93 offset0:14 offset1:15
	v_lshrrev_b32_e32 v127, 16, v52
	v_mul_f16_e32 v27, 0xb964, v43
	v_fma_f16 v93, v127, s0, -v27
	v_lshrrev_b32_e32 v126, 16, v59
	v_mul_f16_e32 v123, 0xbbf7, v87
	v_add_f16_sdwa v93, v93, v0 dst_sel:DWORD dst_unused:UNUSED_PAD src0_sel:DWORD src1_sel:WORD_1
	v_fma_f16 v99, v126, s12, -v123
	v_mul_f16_e32 v124, 0xbb29, v43
	v_fma_f16 v90, v52, s12, -v90
	v_add_f16_e32 v93, v99, v93
	v_fma_f16 v99, v127, s5, -v124
	v_mul_f16_e32 v125, 0xba62, v87
	v_fma_f16 v91, v59, s17, -v91
	v_add_f16_e32 v90, v90, v0
	v_add_f16_sdwa v99, v99, v0 dst_sel:DWORD dst_unused:UNUSED_PAD src0_sel:DWORD src1_sel:WORD_1
	v_fma_f16 v128, v126, s13, -v125
	v_add_f16_e32 v90, v91, v90
	v_mul_f16_e32 v91, 0xbbf7, v43
	v_add_f16_e32 v99, v128, v99
	v_fma_f16 v128, v127, s12, v91
	v_mul_f16_e32 v129, 0xb1e1, v87
	v_add_f16_sdwa v128, v128, v0 dst_sel:DWORD dst_unused:UNUSED_PAD src0_sel:DWORD src1_sel:WORD_1
	v_fma_f16 v130, v126, s17, v129
	v_fma_f16 v91, v127, s12, -v91
	v_add_f16_e32 v132, v130, v128
	v_fma_f16 v128, v126, s17, -v129
	v_add_f16_sdwa v91, v91, v0 dst_sel:DWORD dst_unused:UNUSED_PAD src0_sel:DWORD src1_sel:WORD_1
	v_add_f16_e32 v91, v128, v91
	v_mul_f16_e32 v128, 0xbbb2, v43
	v_fma_f16 v129, v127, s4, v128
	v_mul_f16_e32 v130, 0x3836, v87
	v_add_f16_sdwa v129, v129, v0 dst_sel:DWORD dst_unused:UNUSED_PAD src0_sel:DWORD src1_sel:WORD_1
	v_fma_f16 v131, v126, s16, v130
	v_fma_f16 v128, v127, s4, -v128
	v_add_f16_e32 v134, v131, v129
	v_fma_f16 v129, v126, s16, -v130
	v_add_f16_sdwa v128, v128, v0 dst_sel:DWORD dst_unused:UNUSED_PAD src0_sel:DWORD src1_sel:WORD_1
	v_add_f16_e32 v135, v129, v128
	v_mul_f16_e32 v128, 0xba62, v43
	v_fma_f16 v129, v127, s13, v128
	v_mul_f16_e32 v130, 0x3bb2, v87
	v_add_f16_sdwa v129, v129, v0 dst_sel:DWORD dst_unused:UNUSED_PAD src0_sel:DWORD src1_sel:WORD_1
	v_fma_f16 v131, v126, s4, v130
	v_fma_f16 v128, v127, s13, -v128
	v_add_f16_e32 v136, v131, v129
	v_fma_f16 v129, v126, s4, -v130
	v_add_f16_sdwa v128, v128, v0 dst_sel:DWORD dst_unused:UNUSED_PAD src0_sel:DWORD src1_sel:WORD_1
	v_add_f16_e32 v137, v129, v128
	v_mul_f16_sdwa v128, v43, s22 dst_sel:DWORD dst_unused:UNUSED_PAD src0_sel:WORD_1 src1_sel:DWORD
	v_fma_f16 v129, v52, s16, -v128
	v_mul_f16_sdwa v130, v87, s23 dst_sel:DWORD dst_unused:UNUSED_PAD src0_sel:WORD_1 src1_sel:DWORD
	v_add_f16_e32 v129, v129, v0
	v_fma_f16 v131, v59, s5, -v130
	v_fma_f16 v128, v52, s16, v128
	v_add_f16_e32 v138, v131, v129
	v_mul_f16_e32 v129, 0xb836, v43
	v_fma_f16 v130, v59, s5, v130
	v_add_f16_e32 v128, v128, v0
	v_mul_f16_e32 v133, 0x3b29, v87
	v_add_f16_e32 v140, v130, v128
	v_fma_f16 v128, v127, s16, -v129
	v_fma_f16 v131, v127, s16, v129
	v_fma_f16 v129, v126, s5, -v133
	v_add_f16_sdwa v128, v128, v0 dst_sel:DWORD dst_unused:UNUSED_PAD src0_sel:DWORD src1_sel:WORD_1
	s_mov_b32 s23, 0xb1e1b5c8
	v_add_f16_e32 v143, v129, v128
	s_mov_b32 s22, 0x3b76bbdd
	v_pk_mul_f16 v129, v43, s23
	s_mov_b32 s24, 0x35c8b964
	v_add_f16_sdwa v131, v131, v0 dst_sel:DWORD dst_unused:UNUSED_PAD src0_sel:DWORD src1_sel:WORD_1
	v_fma_f16 v139, v126, s5, v133
	v_pk_fma_f16 v128, v52, s22, v129 op_sel:[0,0,1] op_sel_hi:[1,1,0] neg_lo:[0,0,1] neg_hi:[0,0,1]
	s_mov_b32 s23, 0x39e93b76
	v_pk_mul_f16 v130, v87, s24
	v_mul_f16_e32 v43, 0xb1e1, v43
	v_add_f16_e32 v139, v139, v131
	v_pk_add_f16 v128, v128, v0
	v_pk_fma_f16 v131, v59, s23, v130 op_sel:[0,0,1] op_sel_hi:[1,1,0] neg_lo:[0,0,1] neg_hi:[0,0,1]
	v_mul_f16_e32 v151, 0x35c8, v87
	v_fma_f16 v87, v127, s17, -v43
	v_pk_add_f16 v144, v131, v128
	v_add_f16_sdwa v87, v87, v0 dst_sel:DWORD dst_unused:UNUSED_PAD src0_sel:DWORD src1_sel:WORD_1
	v_fma_f16 v128, v126, s18, -v151
	v_add_f16_e32 v87, v128, v87
	v_lshrrev_b32_e32 v133, 16, v62
	v_mul_f16_e32 v128, 0xba62, v88
	v_fma_f16 v131, v133, s13, -v128
	v_add_f16_e32 v93, v131, v93
	v_mul_f16_e32 v131, 0x31e1, v88
	v_fma_f16 v98, v62, s4, -v98
	v_fma_f16 v145, v133, s17, -v131
	v_add_f16_e32 v90, v98, v90
	v_mul_f16_e32 v98, 0x3bb2, v88
	v_add_f16_e32 v99, v145, v99
	v_fma_f16 v145, v133, s4, v98
	v_fma_f16 v98, v133, s4, -v98
	v_add_f16_e32 v91, v98, v91
	v_mul_f16_e32 v98, 0x3964, v88
	v_add_f16_e32 v145, v145, v132
	v_fma_f16 v132, v133, s0, v98
	v_add_f16_e32 v146, v132, v134
	v_mul_f16_e32 v132, 0xb5c8, v88
	v_fma_f16 v134, v133, s18, v132
	v_fma_f16 v132, v133, s18, -v132
	v_add_f16_e32 v147, v132, v137
	v_mul_f16_sdwa v132, v88, s21 dst_sel:DWORD dst_unused:UNUSED_PAD src0_sel:WORD_1 src1_sel:DWORD
	v_add_f16_e32 v136, v134, v136
	v_fma_f16 v134, v62, s12, -v132
	v_fma_f16 v98, v133, s0, -v98
	v_add_f16_e32 v138, v134, v138
	v_mul_f16_e32 v134, 0xbbf7, v88
	v_add_f16_e32 v98, v98, v135
	v_fma_f16 v135, v133, s12, v134
	v_fma_f16 v132, v62, s12, v132
	s_mov_b32 s24, 0xb836bb29
	v_add_f16_e32 v139, v135, v139
	v_add_f16_e32 v140, v132, v140
	v_fma_f16 v132, v133, s12, -v134
	s_mov_b32 s21, 0x3722bacd
	v_pk_mul_f16 v135, v88, s24
	v_add_f16_e32 v143, v132, v143
	v_pk_fma_f16 v132, v62, s21, v135 op_sel:[0,0,1] op_sel_hi:[1,1,0] neg_lo:[0,0,1] neg_hi:[0,0,1]
	v_mul_f16_e32 v154, 0xb836, v88
	v_pk_add_f16 v144, v132, v144
	v_fma_f16 v88, v133, s16, -v154
	v_lshrrev_b32_e32 v137, 16, v100
	v_mul_f16_e32 v132, 0xb1e1, v89
	v_add_f16_e32 v87, v88, v87
	v_fma_f16 v88, v137, s17, -v132
	v_mul_f16_e32 v134, 0x3bb2, v89
	v_fma_f16 v97, v100, s18, -v97
	v_add_f16_e32 v88, v88, v93
	v_fma_f16 v93, v137, s4, -v134
	v_add_f16_e32 v90, v97, v90
	v_mul_f16_e32 v97, 0x35c8, v89
	v_add_f16_e32 v93, v93, v99
	v_fma_f16 v99, v137, s18, v97
	v_fma_f16 v97, v137, s18, -v97
	v_add_f16_e32 v91, v97, v91
	v_mul_f16_e32 v97, 0xbb29, v89
	v_add_f16_e32 v99, v99, v145
	v_fma_f16 v145, v137, s5, v97
	;; [unrolled: 5-line block ×3, first 2 shown]
	v_add_f16_e32 v146, v146, v136
	v_fma_f16 v98, v137, s16, -v98
	v_mul_f16_sdwa v136, v89, s29 dst_sel:DWORD dst_unused:UNUSED_PAD src0_sel:WORD_1 src1_sel:DWORD
	v_add_f16_e32 v98, v98, v147
	v_fma_f16 v147, v100, s13, -v136
	v_add_f16_e32 v147, v147, v138
	v_mul_f16_e32 v138, 0x3a62, v89
	v_fma_f16 v148, v137, s13, v138
	v_fma_f16 v136, v100, s13, v136
	s_mov_b32 s26, 0x3964bbf7
	v_add_f16_e32 v148, v148, v139
	v_add_f16_e32 v140, v136, v140
	v_fma_f16 v136, v137, s13, -v138
	s_mov_b32 s24, 0x2de839e9
	v_pk_mul_f16 v139, v89, s26
	v_add_f16_e32 v149, v136, v143
	v_pk_fma_f16 v136, v100, s24, v139 op_sel:[0,0,1] op_sel_hi:[1,1,0] neg_lo:[0,0,1] neg_hi:[0,0,1]
	v_mul_f16_e32 v156, 0x3964, v89
	v_pk_add_f16 v144, v136, v144
	v_fma_f16 v89, v137, s0, -v156
	v_lshrrev_b32_e32 v143, 16, v101
	v_mul_f16_e32 v136, 0x3836, v86
	v_add_f16_e32 v87, v89, v87
	v_fma_f16 v89, v143, s16, -v136
	v_mul_f16_e32 v138, 0x3964, v86
	v_add_f16_e32 v88, v89, v88
	v_fma_f16 v89, v143, s0, -v138
	v_add_f16_e32 v89, v89, v93
	v_fma_f16 v93, v101, s5, -v96
	v_add_f16_e32 v90, v93, v90
	v_mul_f16_e32 v93, 0xbb29, v86
	v_fma_f16 v96, v143, s5, v93
	v_fma_f16 v93, v143, s5, -v93
	v_add_f16_e32 v91, v93, v91
	v_mul_f16_e32 v93, 0xb1e1, v86
	v_add_f16_e32 v96, v96, v99
	v_fma_f16 v99, v143, s17, v93
	v_fma_f16 v93, v143, s17, -v93
	v_add_f16_e32 v93, v93, v97
	v_mul_f16_e32 v97, 0x3bf7, v86
	v_add_f16_e32 v99, v99, v145
	v_fma_f16 v145, v143, s12, v97
	v_fma_f16 v97, v143, s12, -v97
	v_add_f16_e32 v97, v97, v98
	v_mul_f16_sdwa v98, v86, s19 dst_sel:DWORD dst_unused:UNUSED_PAD src0_sel:WORD_1 src1_sel:DWORD
	v_add_f16_e32 v146, v145, v146
	v_fma_f16 v145, v101, s18, -v98
	v_add_f16_e32 v150, v145, v147
	v_mul_f16_e32 v145, 0xb5c8, v86
	v_fma_f16 v98, v101, s18, v98
	s_mov_b32 s26, 0xba62bbb2
	v_fma_f16 v147, v143, s18, v145
	v_add_f16_e32 v98, v98, v140
	v_fma_f16 v140, v143, s18, -v145
	s_mov_b32 s19, 0xb461b8d2
	v_pk_mul_f16 v145, v86, s26
	v_add_f16_e32 v149, v140, v149
	v_pk_fma_f16 v140, v101, s19, v145 op_sel:[0,0,1] op_sel_hi:[1,1,0] neg_lo:[0,0,1] neg_hi:[0,0,1]
	v_mul_f16_e32 v86, 0xba62, v86
	v_pk_add_f16 v152, v140, v144
	v_fma_f16 v140, v143, s13, -v86
	v_add_f16_e32 v148, v147, v148
	v_add_f16_e32 v87, v140, v87
	v_lshrrev_b32_e32 v147, 16, v102
	v_mul_f16_e32 v140, 0x3bb2, v46
	v_fma_f16 v144, v147, s4, -v140
	v_add_f16_e32 v88, v144, v88
	v_mul_f16_e32 v144, 0xb5c8, v46
	v_fma_f16 v95, v102, s16, -v95
	v_fma_f16 v153, v147, s18, -v144
	v_add_f16_e32 v90, v95, v90
	v_mul_f16_e32 v95, 0xb836, v46
	v_add_f16_e32 v89, v153, v89
	v_fma_f16 v153, v147, s16, v95
	v_fma_f16 v95, v147, s16, -v95
	v_add_f16_e32 v91, v95, v91
	v_mul_f16_e32 v95, 0x3bf7, v46
	v_add_f16_e32 v96, v153, v96
	v_fma_f16 v153, v147, s12, v95
	;; [unrolled: 5-line block ×3, first 2 shown]
	v_fma_f16 v95, v147, s0, -v95
	v_add_f16_e32 v95, v95, v97
	v_mul_f16_sdwa v97, v46, s20 dst_sel:DWORD dst_unused:UNUSED_PAD src0_sel:WORD_1 src1_sel:DWORD
	v_add_f16_e32 v153, v153, v146
	v_fma_f16 v146, v102, s17, -v97
	v_add_f16_e32 v157, v146, v150
	v_mul_f16_e32 v146, 0xb1e1, v46
	v_fma_f16 v150, v147, s17, v146
	s_mov_b32 s26, 0x3b29ba62
	v_fma_f16 v94, v106, s13, -v94
	v_add_f16_e32 v158, v150, v148
	v_fma_f16 v97, v102, s17, v97
	s_mov_b32 s20, 0xb8d23722
	v_pk_mul_f16 v150, v46, s26
	v_lshrrev_b32_e32 v155, 16, v106
	v_add_f16_e32 v163, v94, v90
	v_mul_f16_e32 v90, 0x3a62, v92
	v_add_f16_e32 v97, v97, v98
	v_fma_f16 v98, v147, s17, -v146
	v_pk_fma_f16 v146, v102, s20, v150 op_sel:[0,0,1] op_sel_hi:[1,1,0] neg_lo:[0,0,1] neg_hi:[0,0,1]
	v_mul_f16_e32 v46, 0x3b29, v46
	v_fma_f16 v94, v155, s13, v90
	v_fma_f16 v90, v155, s13, -v90
	v_add_f16_e32 v98, v98, v149
	v_pk_add_f16 v149, v146, v152
	v_fma_f16 v146, v147, s5, -v46
	v_add_f16_e32 v90, v90, v91
	v_mul_f16_e32 v91, 0xb5c8, v92
	v_add_f16_e32 v87, v146, v87
	v_mul_f16_e32 v146, 0x3b29, v92
	v_add_f16_e32 v94, v94, v96
	v_fma_f16 v96, v155, s18, v91
	v_fma_f16 v91, v155, s18, -v91
	v_fma_f16 v148, v155, s5, -v146
	v_add_f16_e32 v96, v96, v99
	v_add_f16_e32 v99, v91, v93
	v_mul_f16_e32 v91, 0xb1e1, v92
	v_add_f16_e32 v88, v148, v88
	v_mul_f16_e32 v148, 0xbbf7, v92
	v_fma_f16 v93, v155, s17, v91
	v_fma_f16 v91, v155, s17, -v91
	v_fma_f16 v152, v155, s12, -v148
	v_add_f16_e32 v95, v91, v95
	v_mul_f16_sdwa v91, v92, s25 dst_sel:DWORD dst_unused:UNUSED_PAD src0_sel:WORD_1 src1_sel:DWORD
	v_add_f16_e32 v89, v152, v89
	v_add_f16_e32 v152, v93, v153
	v_fma_f16 v93, v106, s0, -v91
	v_add_f16_e32 v164, v93, v157
	v_mul_f16_e32 v93, 0x3964, v92
	v_fma_f16 v91, v106, s0, v91
	s_mov_b32 s26, 0xbbb2b836
	v_add_f16_e32 v165, v91, v97
	v_fma_f16 v91, v155, s0, -v93
	s_mov_b32 s25, 0xbacdb461
	v_pk_mul_f16 v160, v92, s26
	v_add_f16_e32 v97, v91, v98
	v_pk_fma_f16 v91, v106, s25, v160 op_sel:[0,0,1] op_sel_hi:[1,1,0] neg_lo:[0,0,1] neg_hi:[0,0,1]
	v_mul_f16_e32 v166, 0xbbb2, v92
	v_pk_add_f16 v98, v91, v149
	v_fma_f16 v91, v155, s4, -v166
	v_lshrrev_b32_e32 v161, 16, v108
	v_mul_f16_e32 v149, 0x35c8, v109
	v_add_f16_e32 v167, v91, v87
	v_fma_f16 v87, v161, s18, -v149
	v_mul_f16_e32 v159, 0xb836, v109
	v_add_f16_e32 v91, v87, v88
	v_fma_f16 v87, v161, s16, -v159
	v_mul_f16_e32 v88, 0x3964, v109
	v_add_f16_e32 v92, v87, v89
	v_fma_f16 v87, v161, s0, v88
	v_fma_f16 v88, v161, s0, -v88
	v_mul_f16_e32 v89, 0xba62, v109
	v_fma_f16 v153, v155, s0, v93
	v_add_f16_e32 v93, v88, v90
	v_fma_f16 v88, v161, s13, v89
	v_fma_f16 v89, v161, s13, -v89
	v_mul_f16_e32 v90, 0x3b29, v109
	v_add_f16_e32 v87, v87, v94
	v_add_f16_e32 v94, v89, v99
	v_fma_f16 v89, v161, s5, v90
	v_fma_f16 v90, v161, s5, -v90
	v_add_f16_e32 v88, v88, v96
	v_add_f16_e32 v96, v90, v95
	v_mul_f16_e32 v95, 0xbbb2, v109
	s_mov_b32 s18, 0x3bf7b1e1
	v_fma_f16 v90, v161, s4, v95
	v_fma_f16 v95, v161, s4, -v95
	s_mov_b32 s26, 0xbbdd2de8
	v_pk_mul_f16 v162, v109, s18
	v_add_f16_e32 v95, v95, v97
	v_pk_fma_f16 v97, v108, s26, v162 op_sel:[0,0,1] op_sel_hi:[1,1,0] neg_lo:[0,0,1] neg_hi:[0,0,1]
	v_pk_add_f16 v97, v97, v98
	v_pk_fma_f16 v98, v52, s22, v129 op_sel:[0,0,1] op_sel_hi:[1,1,0]
	s_mov_b32 s18, 0x5040100
	v_mul_f16_e32 v99, 0x3b76, v126
	v_add_f16_e32 v89, v89, v152
	v_pack_b32_f16 v98, v151, v98
	v_perm_b32 v99, v0, v99, s18
	v_fma_f16 v43, v127, s17, v43
	v_pk_mul_f16 v152, v59, s23
	s_mov_b32 s23, 0x7060302
	v_add_f16_e32 v153, v153, v158
	v_pk_add_f16 v98, v98, v99
	v_pack_b32_f16 v43, v43, v152
	v_perm_b32 v99, v130, v0, s23
	v_add_f16_e32 v90, v90, v153
	v_pk_add_f16 v43, v43, v99
	v_pk_mul_f16 v153, v62, s21
	v_mul_f16_e32 v99, 0xbacd, v133
	v_fma_f16 v28, v36, s0, v28
	v_pk_add_f16 v43, v43, v98
	v_pack_b32_f16 v98, v154, v153
	v_bfi_b32 v99, s34, v99, v135
	v_add_f16_e32 v28, v28, v141
	v_fma_f16 v31, v31, s5, v34
	v_pk_add_f16 v98, v98, v99
	v_pk_mul_f16 v154, v100, s24
	v_mul_f16_e32 v99, 0x39e9, v137
	v_add_f16_e32 v28, v31, v28
	v_fma_f16 v31, v39, s12, v38
	v_pk_add_f16 v43, v98, v43
	v_pack_b32_f16 v98, v156, v154
	v_bfi_b32 v99, s34, v99, v139
	v_add_f16_e32 v28, v31, v28
	v_fma_f16 v31, v35, s4, v42
	v_pk_add_f16 v98, v98, v99
	v_add_f16_e32 v28, v31, v28
	v_fma_f16 v31, v117, s13, v119
	v_pk_add_f16 v43, v98, v43
	v_pk_mul_f16 v156, v101, s19
	v_mul_f16_e32 v98, 0xb8d2, v143
	v_add_f16_e32 v28, v31, v28
	v_fma_f16 v31, v41, s16, v120
	v_pack_b32_f16 v86, v86, v156
	v_bfi_b32 v98, s34, v98, v145
	v_add_f16_e32 v28, v31, v28
	v_fma_f16 v29, v122, s17, v29
	v_pk_add_f16 v86, v86, v98
	v_add_f16_e32 v28, v29, v28
	v_add_f16_e32 v29, v32, v142
	v_pk_add_f16 v43, v86, v43
	v_pk_mul_f16 v157, v102, s20
	v_mul_f16_e32 v86, 0x3722, v147
	v_add_f16_e32 v29, v33, v29
	v_pack_b32_f16 v46, v46, v157
	v_bfi_b32 v86, s34, v86, v150
	v_add_f16_e32 v29, v37, v29
	v_pk_add_f16 v46, v46, v86
	v_pk_mul_f16 v158, v106, s25
	v_mul_f16_e32 v86, 0xb461, v155
	v_add_f16_e32 v29, v40, v29
	v_pk_add_f16 v43, v46, v43
	v_pack_b32_f16 v46, v166, v158
	v_bfi_b32 v86, s34, v86, v160
	v_add_f16_e32 v29, v118, v29
	v_pk_add_f16 v46, v46, v86
	v_add_f16_e32 v29, v121, v29
	v_pk_add_f16 v43, v46, v43
	v_mul_f16_e32 v46, 0x2de8, v161
	v_pk_mul_f16 v151, v108, s26
	v_mul_f16_e32 v86, 0x3bf7, v109
	v_add_f16_e32 v29, v30, v29
	v_bfi_b32 v46, s34, v46, v162
	v_pack_b32_f16 v98, v86, v151
	v_pack_b32_f16 v28, v28, v29
	v_pk_add_f16 v46, v98, v46
	ds_write_b32 v85, v28 offset:64
	v_fma_f16 v28, v108, s0, -v116
	v_mul_f16_sdwa v29, v109, s1 dst_sel:DWORD dst_unused:UNUSED_PAD src0_sel:WORD_1 src1_sel:DWORD
	v_pk_add_f16 v98, v46, v43
	v_fma_f16 v43, v161, s12, -v86
	v_fma_f16 v30, v108, s4, -v29
	v_fma_f16 v29, v108, s4, v29
	v_add_f16_e32 v42, v28, v163
	v_add_co_u32_e64 v28, s[0:1], 17, v66
	v_add_f16_e32 v99, v43, v167
	v_add_f16_e32 v43, v30, v164
	;; [unrolled: 1-line block ×3, first 2 shown]
	v_mul_u32_u24_e32 v86, 17, v28
	s_and_saveexec_b64 s[0:1], vcc
	s_cbranch_execz .LBB0_7
; %bb.6:
	v_mul_f16_e32 v30, 0x39e9, v127
	v_mul_f16_e32 v35, 0x2de8, v126
	v_add_f16_e32 v27, v27, v30
	v_mul_f16_e32 v40, 0xb8d2, v133
	v_add_f16_sdwa v27, v27, v0 dst_sel:DWORD dst_unused:UNUSED_PAD src0_sel:DWORD src1_sel:WORD_1
	v_add_f16_e32 v30, v123, v35
	v_mul_f16_e32 v116, 0xbbdd, v137
	v_add_f16_e32 v27, v30, v27
	v_add_f16_e32 v30, v128, v40
	v_mul_f16_e32 v120, 0xbacd, v143
	v_add_f16_e32 v27, v30, v27
	v_add_f16_e32 v30, v132, v116
	v_mul_f16_e32 v32, 0x3722, v127
	v_mul_f16_e32 v127, 0xb461, v147
	v_add_f16_e32 v27, v30, v27
	v_add_f16_e32 v30, v136, v120
	v_mul_f16_e32 v142, 0x3722, v155
	v_add_f16_e32 v27, v30, v27
	v_add_f16_e32 v30, v140, v127
	v_mul_f16_e32 v29, 0x39e9, v52
	v_mul_f16_e32 v163, 0x3b76, v161
	v_add_f16_e32 v27, v30, v27
	v_add_f16_e32 v30, v146, v142
	v_mul_f16_e32 v34, 0x2de8, v59
	v_add_f16_e32 v27, v30, v27
	v_add_f16_e32 v30, v149, v163
	v_sub_f16_e32 v29, v29, v49
	v_mul_f16_e32 v39, 0xb8d2, v62
	v_add_f16_e32 v27, v30, v27
	v_add_f16_e32 v29, v29, v0
	v_sub_f16_e32 v30, v34, v53
	v_mul_f16_e32 v109, 0xbbdd, v100
	v_add_f16_e32 v29, v30, v29
	v_sub_f16_e32 v30, v39, v56
	v_mul_f16_e32 v119, 0xbacd, v101
	;; [unrolled: 3-line block ×3, first 2 shown]
	v_mul_f16_e32 v126, 0xb461, v102
	v_add_f16_e32 v29, v30, v29
	v_sub_f16_e32 v30, v119, v61
	v_mul_f16_e32 v141, 0x3722, v106
	v_add_f16_e32 v29, v30, v29
	v_sub_f16_e32 v30, v126, v64
	v_mul_f16_e32 v121, 0x39e9, v143
	v_mul_f16_e32 v143, 0x2de8, v155
	;; [unrolled: 1-line block ×3, first 2 shown]
	v_add_f16_e32 v29, v30, v29
	v_sub_f16_e32 v30, v141, v104
	v_mul_f16_e32 v28, 0x3b76, v52
	v_mul_f16_e32 v31, 0x3722, v52
	v_pk_mul_f16 v52, v52, s22
	v_add_f16_e32 v29, v30, v29
	v_sub_f16_e32 v30, v155, v107
	v_alignbit_b32 v129, v129, v129, 16
	v_add_f16_e32 v29, v30, v29
	v_bfi_b32 v30, s34, v48, v52
	v_mul_f16_e32 v36, 0xb8d2, v59
	v_sub_f16_e32 v31, v31, v51
	v_pk_add_f16 v28, v28, v30 neg_lo:[0,1] neg_hi:[0,1]
	v_pk_add_f16 v30, v129, v52
	v_pk_add_f16 v1, v1, v0
	v_mul_f16_e32 v33, 0x39e9, v59
	v_mul_f16_e32 v41, 0xbbdd, v62
	v_alignbit_b32 v130, v130, v130, 16
	v_add_f16_e32 v31, v31, v0
	v_sub_f16_e32 v36, v36, v55
	v_bfi_b32 v28, s34, v28, v30
	v_bfi_b32 v30, s34, v50, v152
	v_pk_add_f16 v1, v10, v1
	v_mul_f16_e32 v38, 0x3722, v62
	v_mul_f16_e32 v62, 0x2de8, v100
	;; [unrolled: 1-line block ×3, first 2 shown]
	v_add_f16_e32 v32, v124, v32
	v_add_f16_e32 v31, v36, v31
	v_sub_f16_e32 v36, v41, v110
	v_pk_add_f16 v30, v33, v30 neg_lo:[0,1] neg_hi:[0,1]
	v_pk_add_f16 v33, v130, v152
	v_pk_add_f16 v1, v11, v1
	v_mul_f16_e32 v59, 0xbbdd, v133
	v_mul_f16_e32 v118, 0xb461, v101
	v_mul_f16_e32 v101, 0x39e9, v101
	v_alignbit_b32 v135, v135, v135, 16
	v_add_f16_sdwa v32, v32, v0 dst_sel:DWORD dst_unused:UNUSED_PAD src0_sel:DWORD src1_sel:WORD_1
	v_add_f16_e32 v37, v125, v37
	v_add_f16_e32 v31, v36, v31
	v_sub_f16_e32 v36, v100, v111
	v_bfi_b32 v30, s34, v30, v33
	v_bfi_b32 v33, s34, v54, v153
	v_pk_add_f16 v1, v8, v1
	v_mul_f16_e32 v117, 0xb461, v137
	v_mul_f16_e32 v122, 0xb8d2, v102
	;; [unrolled: 1-line block ×3, first 2 shown]
	v_add_f16_e32 v32, v37, v32
	v_add_f16_e32 v37, v131, v59
	;; [unrolled: 1-line block ×3, first 2 shown]
	v_sub_f16_e32 v36, v101, v112
	v_pk_add_f16 v33, v38, v33 neg_lo:[0,1] neg_hi:[0,1]
	v_pk_add_f16 v34, v135, v153
	v_pk_add_f16 v1, v9, v1
	v_mul_f16_e32 v137, 0xbacd, v106
	v_mul_f16_e32 v106, 0x2de8, v106
	v_alignbit_b32 v139, v139, v139, 16
	v_add_f16_e32 v32, v37, v32
	v_add_f16_e32 v37, v134, v117
	;; [unrolled: 1-line block ×3, first 2 shown]
	v_sub_f16_e32 v36, v102, v113
	v_bfi_b32 v33, s34, v33, v34
	v_bfi_b32 v34, s34, v57, v154
	v_pk_add_f16 v1, v4, v1
	v_mul_f16_e32 v133, 0x3b76, v147
	v_mul_f16_e32 v147, 0xbbdd, v108
	;; [unrolled: 1-line block ×3, first 2 shown]
	v_add_f16_e32 v32, v37, v32
	v_add_f16_e32 v37, v138, v121
	;; [unrolled: 1-line block ×3, first 2 shown]
	v_sub_f16_e32 v36, v106, v114
	v_pk_add_f16 v34, v62, v34 neg_lo:[0,1] neg_hi:[0,1]
	v_pk_add_f16 v35, v139, v154
	v_pk_add_f16 v1, v5, v1
	v_alignbit_b32 v145, v145, v145, 16
	v_add_f16_e32 v32, v37, v32
	v_add_f16_e32 v37, v144, v133
	;; [unrolled: 1-line block ×3, first 2 shown]
	v_sub_f16_e32 v36, v108, v115
	v_bfi_b32 v34, s34, v34, v35
	v_bfi_b32 v35, s34, v60, v156
	v_pk_add_f16 v1, v2, v1
	v_mul_f16_e32 v161, 0xbacd, v161
	v_add_f16_e32 v32, v37, v32
	v_add_f16_e32 v37, v148, v143
	;; [unrolled: 1-line block ×3, first 2 shown]
	v_pk_add_f16 v35, v118, v35 neg_lo:[0,1] neg_hi:[0,1]
	v_pk_add_f16 v36, v145, v156
	v_pk_add_f16 v1, v3, v1
	;; [unrolled: 1-line block ×3, first 2 shown]
	v_alignbit_b32 v150, v150, v150, 16
	v_add_f16_e32 v32, v37, v32
	v_add_f16_e32 v37, v159, v161
	v_bfi_b32 v35, s34, v35, v36
	v_bfi_b32 v36, s34, v63, v157
	v_pk_add_f16 v1, v6, v1
	v_pk_add_f16 v0, v30, v0
	v_add_f16_e32 v32, v37, v32
	v_pk_add_f16 v36, v122, v36 neg_lo:[0,1] neg_hi:[0,1]
	v_pk_add_f16 v37, v150, v157
	v_pk_add_f16 v1, v7, v1
	;; [unrolled: 1-line block ×3, first 2 shown]
	v_alignbit_b32 v160, v160, v160, 16
	v_bfi_b32 v36, s34, v36, v37
	v_bfi_b32 v37, s34, v103, v158
	v_pk_add_f16 v1, v23, v1
	v_pk_add_f16 v0, v34, v0
	v_alignbit_b32 v162, v162, v162, 16
	v_pk_add_f16 v37, v137, v37 neg_lo:[0,1] neg_hi:[0,1]
	v_pk_add_f16 v38, v160, v158
	v_pk_add_f16 v1, v24, v1
	;; [unrolled: 1-line block ×3, first 2 shown]
	v_bfi_b32 v2, s34, v105, v151
	v_bfi_b32 v37, s34, v37, v38
	v_pk_add_f16 v1, v25, v1
	v_pk_add_f16 v0, v36, v0
	v_pk_add_f16 v2, v147, v2 neg_lo:[0,1] neg_hi:[0,1]
	v_pk_add_f16 v3, v162, v151
	v_pk_add_f16 v1, v26, v1
	;; [unrolled: 1-line block ×3, first 2 shown]
	v_bfi_b32 v2, s34, v2, v3
	v_lshl_add_u32 v8, v86, 2, v84
	v_pk_add_f16 v1, v47, v1
	v_pk_add_f16 v0, v2, v0
	ds_write2_b32 v8, v1, v0 offset1:1
	v_pack_b32_f16 v0, v31, v32
	v_pack_b32_f16 v1, v29, v27
	ds_write2_b32 v8, v1, v0 offset0:2 offset1:3
	v_perm_b32 v0, v88, v19, s18
	v_perm_b32 v1, v87, v42, s18
	ds_write2_b32 v8, v1, v0 offset0:4 offset1:5
	v_perm_b32 v0, v90, v43, s18
	v_perm_b32 v1, v89, v20, s18
	ds_write2_b32 v8, v1, v0 offset0:6 offset1:7
	v_perm_b32 v0, v98, v97, s18
	v_alignbit_b32 v1, v99, v98, 16
	ds_write2_b32 v8, v0, v1 offset0:8 offset1:9
	v_perm_b32 v0, v96, v21, s18
	v_perm_b32 v1, v95, v46, s18
	ds_write2_b32 v8, v1, v0 offset0:10 offset1:11
	v_perm_b32 v0, v93, v17, s18
	v_perm_b32 v1, v94, v22, s18
	;; [unrolled: 3-line block ×3, first 2 shown]
	ds_write2_b32 v8, v1, v0 offset0:14 offset1:15
	v_bfi_b32 v0, s34, v16, v97
	ds_write_b32 v8, v0 offset:64
.LBB0_7:
	s_or_b64 exec, exec, s[0:1]
	v_add_u16_e32 v6, 34, v66
	s_movk_i32 s0, 0xf1
	v_mul_lo_u16_sdwa v7, v6, s0 dst_sel:DWORD dst_unused:UNUSED_PAD src0_sel:BYTE_0 src1_sel:DWORD
	v_lshrrev_b16_e32 v7, 12, v7
	v_mul_lo_u16_e32 v7, 17, v7
	v_sub_u16_e32 v41, v6, v7
	v_add_u16_e32 v7, 51, v66
	v_mul_lo_u16_sdwa v8, v7, s0 dst_sel:DWORD dst_unused:UNUSED_PAD src0_sel:BYTE_0 src1_sel:DWORD
	v_lshlrev_b16_e32 v6, 1, v41
	v_lshrrev_b16_e32 v8, 12, v8
	v_lshlrev_b32_e32 v2, 3, v66
	v_and_b32_e32 v6, 0xfe, v6
	v_mul_lo_u16_e32 v8, 17, v8
	s_waitcnt lgkmcnt(0)
	s_barrier
	global_load_dwordx2 v[23:24], v2, s[2:3]
	v_lshlrev_b32_e32 v6, 2, v6
	v_sub_u16_e32 v49, v7, v8
	ds_read2_b32 v[0:1], v65 offset1:17
	ds_read2_b32 v[2:3], v65 offset0:102 offset1:119
	ds_read2_b32 v[4:5], v65 offset0:238 offset1:255
	global_load_dwordx2 v[25:26], v6, s[2:3]
	v_lshlrev_b16_e32 v6, 1, v49
	v_add_u16_e32 v7, 0x44, v66
	v_and_b32_e32 v6, 0xfe, v6
	v_mul_lo_u16_sdwa v8, v7, s0 dst_sel:DWORD dst_unused:UNUSED_PAD src0_sel:BYTE_0 src1_sel:DWORD
	v_lshlrev_b32_e32 v6, 2, v6
	v_lshrrev_b16_e32 v8, 12, v8
	global_load_dwordx2 v[29:30], v6, s[2:3]
	v_mul_lo_u16_e32 v6, 17, v8
	v_sub_u16_e32 v50, v7, v6
	v_lshlrev_b16_e32 v6, 1, v50
	v_and_b32_e32 v6, 0xfe, v6
	v_lshlrev_b32_e32 v6, 2, v6
	global_load_dwordx2 v[27:28], v6, s[2:3]
	v_add_u16_e32 v6, 0x55, v66
	v_mul_lo_u16_sdwa v7, v6, s0 dst_sel:DWORD dst_unused:UNUSED_PAD src0_sel:BYTE_0 src1_sel:DWORD
	v_lshrrev_b16_e32 v7, 12, v7
	v_mul_lo_u16_e32 v7, 17, v7
	v_sub_u16_e32 v51, v6, v7
	v_lshlrev_b16_e32 v6, 1, v51
	v_and_b32_e32 v6, 0xfe, v6
	v_lshlrev_b32_e32 v6, 2, v6
	v_add_u16_e32 v7, 0x66, v66
	global_load_dwordx2 v[31:32], v6, s[2:3]
	v_mul_lo_u16_sdwa v6, v7, s0 dst_sel:DWORD dst_unused:UNUSED_PAD src0_sel:BYTE_0 src1_sel:DWORD
	v_lshrrev_b16_e32 v6, 12, v6
	v_mul_lo_u16_e32 v6, 17, v6
	v_sub_u16_e32 v52, v7, v6
	v_lshlrev_b16_e32 v6, 1, v52
	v_and_b32_e32 v6, 0xfe, v6
	v_lshlrev_b32_e32 v6, 2, v6
	global_load_dwordx2 v[33:34], v6, s[2:3]
	ds_read2_b32 v[6:7], v65 offset0:136 offset1:153
	s_waitcnt lgkmcnt(2)
	v_lshrrev_b32_e32 v54, 16, v3
	s_waitcnt lgkmcnt(1)
	v_lshrrev_b32_e32 v55, 16, v4
	v_add_u32_e32 v63, 0x400, v65
	ds_read2_b32 v[10:11], v63 offset0:16 offset1:33
	s_waitcnt lgkmcnt(1)
	v_lshrrev_b32_e32 v57, 16, v6
	v_lshrrev_b32_e32 v58, 16, v5
	ds_read2_b32 v[35:36], v65 offset0:170 offset1:187
	v_lshrrev_b32_e32 v60, 16, v7
	s_waitcnt lgkmcnt(1)
	v_lshrrev_b32_e32 v61, 16, v10
	ds_read2_b32 v[39:40], v63 offset0:50 offset1:67
	v_lshrrev_b32_e32 v100, 16, v11
	s_waitcnt lgkmcnt(1)
	;; [unrolled: 4-line block ×3, first 2 shown]
	v_lshrrev_b32_e32 v103, 16, v39
	ds_read_b32 v105, v65 offset:1360
	v_lshrrev_b32_e32 v107, 16, v40
	s_waitcnt lgkmcnt(1)
	v_lshrrev_b32_e32 v106, 16, v47
	v_lshrrev_b32_e32 v109, 16, v48
	;; [unrolled: 1-line block ×3, first 2 shown]
	s_waitcnt lgkmcnt(0)
	v_lshrrev_b32_e32 v110, 16, v105
	s_movk_i32 s0, 0x3aee
	s_mov_b32 s1, 0xbaee
	ds_read2_b32 v[8:9], v65 offset0:34 offset1:51
	v_lshrrev_b32_e32 v56, 16, v1
	ds_read2_b32 v[37:38], v65 offset0:68 offset1:85
	v_lshrrev_b32_e32 v108, 16, v2
	s_waitcnt lgkmcnt(0)
	v_lshrrev_b32_e32 v59, 16, v8
	v_lshrrev_b32_e32 v62, 16, v9
	;; [unrolled: 1-line block ×4, first 2 shown]
	s_waitcnt vmcnt(0)
	s_barrier
	s_mov_b32 s4, 0xb9e0
	s_movk_i32 s5, 0x3574
	s_mov_b32 s12, 0xb574
	s_movk_i32 s13, 0x370e
	v_mul_f16_sdwa v111, v54, v23 dst_sel:DWORD dst_unused:UNUSED_PAD src0_sel:DWORD src1_sel:WORD_1
	v_fma_f16 v111, v3, v23, -v111
	v_mul_f16_sdwa v3, v3, v23 dst_sel:DWORD dst_unused:UNUSED_PAD src0_sel:DWORD src1_sel:WORD_1
	v_fma_f16 v3, v54, v23, v3
	v_mul_f16_sdwa v54, v55, v24 dst_sel:DWORD dst_unused:UNUSED_PAD src0_sel:DWORD src1_sel:WORD_1
	v_fma_f16 v54, v4, v24, -v54
	v_mul_f16_sdwa v4, v4, v24 dst_sel:DWORD dst_unused:UNUSED_PAD src0_sel:DWORD src1_sel:WORD_1
	v_fma_f16 v4, v55, v24, v4
	;; [unrolled: 4-line block ×13, first 2 shown]
	v_mul_f16_sdwa v109, v110, v34 dst_sel:DWORD dst_unused:UNUSED_PAD src0_sel:DWORD src1_sel:WORD_1
	v_fma_f16 v109, v105, v34, -v109
	v_mul_f16_sdwa v105, v105, v34 dst_sel:DWORD dst_unused:UNUSED_PAD src0_sel:DWORD src1_sel:WORD_1
	v_add_f16_e32 v112, v111, v54
	v_fma_f16 v105, v110, v34, v105
	v_add_f16_e32 v110, v0, v111
	v_fma_f16 v0, v112, -0.5, v0
	v_sub_f16_e32 v112, v3, v4
	v_fma_f16 v113, v112, s0, v0
	v_fma_f16 v0, v112, s1, v0
	v_add_f16_e32 v112, v53, v3
	v_add_f16_e32 v3, v3, v4
	;; [unrolled: 1-line block ×4, first 2 shown]
	v_fma_f16 v3, v3, -0.5, v53
	v_sub_f16_e32 v4, v111, v54
	v_add_f16_e32 v54, v55, v57
	v_fma_f16 v53, v4, s1, v3
	v_fma_f16 v3, v4, s0, v3
	v_add_f16_e32 v4, v1, v55
	v_fma_f16 v1, v54, -0.5, v1
	v_sub_f16_e32 v54, v6, v5
	v_fma_f16 v111, v54, s0, v1
	v_fma_f16 v1, v54, s1, v1
	v_add_f16_e32 v54, v56, v6
	v_add_f16_e32 v54, v54, v5
	v_add_f16_e32 v5, v6, v5
	v_fma_f16 v5, v5, -0.5, v56
	v_sub_f16_e32 v6, v55, v57
	v_add_f16_e32 v56, v58, v60
	v_fma_f16 v55, v6, s1, v5
	v_fma_f16 v5, v6, s0, v5
	v_add_f16_e32 v6, v8, v58
	v_fma_f16 v8, v56, -0.5, v8
	v_sub_f16_e32 v56, v7, v10
	v_add_f16_e32 v4, v4, v57
	v_fma_f16 v57, v56, s0, v8
	v_fma_f16 v8, v56, s1, v8
	v_add_f16_e32 v56, v59, v7
	v_add_f16_e32 v7, v7, v10
	v_add_f16_e32 v56, v56, v10
	v_fma_f16 v7, v7, -0.5, v59
	v_sub_f16_e32 v10, v58, v60
	v_add_f16_e32 v59, v61, v64
	v_fma_f16 v58, v10, s1, v7
	v_fma_f16 v7, v10, s0, v7
	v_add_f16_e32 v10, v9, v61
	v_fma_f16 v9, v59, -0.5, v9
	v_sub_f16_e32 v59, v35, v11
	v_add_f16_e32 v6, v6, v60
	;; [unrolled: 14-line block ×3, first 2 shown]
	v_fma_f16 v64, v62, s0, v37
	v_fma_f16 v37, v62, s1, v37
	v_add_f16_e32 v62, v101, v36
	v_add_f16_e32 v36, v36, v39
	;; [unrolled: 1-line block ×3, first 2 shown]
	v_fma_f16 v36, v36, -0.5, v101
	v_sub_f16_e32 v39, v100, v102
	v_add_f16_e32 v100, v103, v106
	v_fma_f16 v114, v39, s1, v36
	v_fma_f16 v36, v39, s0, v36
	v_add_f16_e32 v39, v38, v103
	v_fma_f16 v38, v100, -0.5, v38
	v_sub_f16_e32 v100, v47, v40
	v_fma_f16 v115, v100, s0, v38
	v_fma_f16 v38, v100, s1, v38
	v_add_f16_e32 v100, v104, v47
	v_add_f16_e32 v116, v100, v40
	;; [unrolled: 1-line block ×3, first 2 shown]
	v_fma_f16 v40, v40, -0.5, v104
	v_sub_f16_e32 v47, v103, v106
	v_add_f16_e32 v100, v107, v109
	v_fma_f16 v104, v47, s1, v40
	v_fma_f16 v40, v47, s0, v40
	v_add_f16_e32 v47, v2, v107
	v_fma_f16 v2, v100, -0.5, v2
	v_sub_f16_e32 v100, v48, v105
	v_add_f16_e32 v39, v39, v106
	v_fma_f16 v106, v100, s0, v2
	v_fma_f16 v2, v100, s1, v2
	v_add_f16_e32 v100, v108, v48
	v_add_f16_e32 v48, v48, v105
	v_pack_b32_f16 v0, v0, v3
	v_pack_b32_f16 v3, v4, v54
	v_add_f16_e32 v117, v100, v105
	v_fma_f16 v48, v48, -0.5, v108
	v_sub_f16_e32 v100, v107, v109
	ds_write2_b32 v65, v0, v3 offset0:34 offset1:51
	v_pack_b32_f16 v0, v111, v55
	v_pack_b32_f16 v1, v1, v5
	v_fma_f16 v105, v100, s1, v48
	v_fma_f16 v48, v100, s0, v48
	v_pack_b32_f16 v100, v110, v112
	v_pack_b32_f16 v53, v113, v53
	ds_write2_b32 v65, v0, v1 offset0:68 offset1:85
	v_and_b32_e32 v0, 0xff, v41
	ds_write2_b32 v65, v100, v53 offset1:17
	v_lshl_add_u32 v100, v0, 2, v84
	v_pack_b32_f16 v0, v6, v56
	v_pack_b32_f16 v1, v57, v58
	ds_write2_b32 v100, v0, v1 offset0:102 offset1:119
	v_pack_b32_f16 v0, v8, v7
	ds_write_b32 v100, v0 offset:544
	v_and_b32_e32 v0, 0xff, v49
	v_lshl_add_u32 v101, v0, 2, v84
	v_pack_b32_f16 v0, v10, v59
	v_pack_b32_f16 v1, v60, v61
	ds_write2_b32 v101, v0, v1 offset0:153 offset1:170
	v_pack_b32_f16 v0, v9, v11
	v_add_f16_e32 v35, v35, v102
	ds_write_b32 v101, v0 offset:748
	v_and_b32_e32 v0, 0xff, v50
	v_lshl_add_u32 v102, v0, 2, v84
	v_pack_b32_f16 v0, v35, v62
	v_pack_b32_f16 v1, v64, v114
	ds_write2_b32 v102, v0, v1 offset0:204 offset1:221
	v_pack_b32_f16 v0, v37, v36
	ds_write_b32 v102, v0 offset:952
	v_and_b32_e32 v0, 0xff, v51
	v_lshl_add_u32 v103, v0, 2, v84
	v_pack_b32_f16 v0, v39, v116
	v_pack_b32_f16 v1, v115, v104
	v_add_u32_e32 v3, 0x200, v103
	ds_write2_b32 v3, v0, v1 offset0:127 offset1:144
	v_pack_b32_f16 v0, v38, v40
	ds_write_b32 v103, v0 offset:1156
	v_and_b32_e32 v0, 0xff, v52
	v_mad_u64_u32 v[39:40], s[0:1], v66, 24, s[2:3]
	v_add_f16_e32 v47, v47, v109
	v_lshl_add_u32 v104, v0, 2, v84
	v_pack_b32_f16 v0, v47, v117
	v_pack_b32_f16 v1, v106, v105
	v_add_u32_e32 v3, 0x400, v104
	ds_write2_b32 v3, v0, v1 offset0:50 offset1:67
	v_pack_b32_f16 v0, v2, v48
	ds_write_b32 v104, v0 offset:1360
	s_waitcnt lgkmcnt(0)
	s_barrier
	global_load_dwordx4 v[0:3], v[39:40], off offset:136
	global_load_dwordx2 v[35:36], v[39:40], off offset:152
	global_load_dwordx4 v[4:7], v[39:40], off offset:544
	global_load_dwordx2 v[37:38], v[39:40], off offset:560
	global_load_dwordx4 v[8:11], v[39:40], off offset:952
	ds_read2_b32 v[47:48], v65 offset0:34 offset1:51
	ds_read2_b32 v[49:50], v65 offset1:17
	ds_read2_b32 v[51:52], v65 offset0:102 offset1:119
	ds_read2_b32 v[53:54], v65 offset0:136 offset1:153
	;; [unrolled: 1-line block ×7, first 2 shown]
	global_load_dwordx2 v[39:40], v[39:40], off offset:968
	s_waitcnt lgkmcnt(8)
	v_lshrrev_b32_e32 v41, 16, v48
	s_waitcnt lgkmcnt(6)
	v_lshrrev_b32_e32 v64, 16, v51
	s_waitcnt lgkmcnt(5)
	v_lshrrev_b32_e32 v109, 16, v54
	s_waitcnt lgkmcnt(4)
	v_lshrrev_b32_e32 v110, 16, v55
	s_waitcnt lgkmcnt(3)
	v_lshrrev_b32_e32 v111, 16, v58
	s_waitcnt lgkmcnt(2)
	v_lshrrev_b32_e32 v112, 16, v59
	s_waitcnt lgkmcnt(1)
	v_lshrrev_b32_e32 v113, 16, v61
	v_lshrrev_b32_e32 v114, 16, v52
	ds_read2_b32 v[107:108], v63 offset0:16 offset1:33
	s_waitcnt lgkmcnt(1)
	v_lshrrev_b32_e32 v115, 16, v105
	v_lshrrev_b32_e32 v116, 16, v56
	;; [unrolled: 1-line block ×4, first 2 shown]
	s_waitcnt lgkmcnt(0)
	v_lshrrev_b32_e32 v117, 16, v107
	v_lshrrev_b32_e32 v121, 16, v53
	;; [unrolled: 1-line block ×3, first 2 shown]
	ds_read_b32 v120, v65 offset:1360
	v_lshrrev_b32_e32 v123, 16, v57
	v_lshrrev_b32_e32 v124, 16, v108
	s_movk_i32 s0, 0x2b26
	s_movk_i32 s1, 0x3b00
	s_waitcnt lgkmcnt(0)
	v_lshrrev_b32_e32 v125, 16, v120
	s_mov_b32 s2, 0xbcab
	s_movk_i32 s3, 0x39e0
	s_waitcnt vmcnt(5)
	v_mul_f16_sdwa v126, v41, v0 dst_sel:DWORD dst_unused:UNUSED_PAD src0_sel:DWORD src1_sel:WORD_1
	v_fma_f16 v126, v48, v0, -v126
	v_mul_f16_sdwa v48, v48, v0 dst_sel:DWORD dst_unused:UNUSED_PAD src0_sel:DWORD src1_sel:WORD_1
	v_fma_f16 v41, v41, v0, v48
	v_mul_f16_sdwa v48, v64, v1 dst_sel:DWORD dst_unused:UNUSED_PAD src0_sel:DWORD src1_sel:WORD_1
	v_fma_f16 v48, v51, v1, -v48
	v_mul_f16_sdwa v51, v51, v1 dst_sel:DWORD dst_unused:UNUSED_PAD src0_sel:DWORD src1_sel:WORD_1
	v_fma_f16 v51, v64, v1, v51
	v_mul_f16_sdwa v64, v109, v2 dst_sel:DWORD dst_unused:UNUSED_PAD src0_sel:DWORD src1_sel:WORD_1
	v_fma_f16 v64, v54, v2, -v64
	v_mul_f16_sdwa v54, v54, v2 dst_sel:DWORD dst_unused:UNUSED_PAD src0_sel:DWORD src1_sel:WORD_1
	v_fma_f16 v54, v109, v2, v54
	v_mul_f16_sdwa v109, v110, v3 dst_sel:DWORD dst_unused:UNUSED_PAD src0_sel:DWORD src1_sel:WORD_1
	v_fma_f16 v109, v55, v3, -v109
	v_mul_f16_sdwa v55, v55, v3 dst_sel:DWORD dst_unused:UNUSED_PAD src0_sel:DWORD src1_sel:WORD_1
	v_fma_f16 v55, v110, v3, v55
	s_waitcnt vmcnt(4)
	v_mul_f16_sdwa v110, v111, v35 dst_sel:DWORD dst_unused:UNUSED_PAD src0_sel:DWORD src1_sel:WORD_1
	v_fma_f16 v110, v58, v35, -v110
	v_mul_f16_sdwa v58, v58, v35 dst_sel:DWORD dst_unused:UNUSED_PAD src0_sel:DWORD src1_sel:WORD_1
	v_fma_f16 v58, v111, v35, v58
	v_mul_f16_sdwa v111, v112, v36 dst_sel:DWORD dst_unused:UNUSED_PAD src0_sel:DWORD src1_sel:WORD_1
	v_fma_f16 v111, v59, v36, -v111
	v_mul_f16_sdwa v59, v59, v36 dst_sel:DWORD dst_unused:UNUSED_PAD src0_sel:DWORD src1_sel:WORD_1
	v_fma_f16 v59, v112, v36, v59
	s_waitcnt vmcnt(3)
	v_mul_f16_sdwa v112, v113, v4 dst_sel:DWORD dst_unused:UNUSED_PAD src0_sel:DWORD src1_sel:WORD_1
	v_fma_f16 v112, v61, v4, -v112
	v_mul_f16_sdwa v61, v61, v4 dst_sel:DWORD dst_unused:UNUSED_PAD src0_sel:DWORD src1_sel:WORD_1
	v_fma_f16 v61, v113, v4, v61
	v_mul_f16_sdwa v113, v114, v5 dst_sel:DWORD dst_unused:UNUSED_PAD src0_sel:DWORD src1_sel:WORD_1
	v_fma_f16 v113, v52, v5, -v113
	v_mul_f16_sdwa v52, v52, v5 dst_sel:DWORD dst_unused:UNUSED_PAD src0_sel:DWORD src1_sel:WORD_1
	v_fma_f16 v52, v114, v5, v52
	v_mul_f16_sdwa v114, v115, v6 dst_sel:DWORD dst_unused:UNUSED_PAD src0_sel:DWORD src1_sel:WORD_1
	v_fma_f16 v114, v105, v6, -v114
	v_mul_f16_sdwa v105, v105, v6 dst_sel:DWORD dst_unused:UNUSED_PAD src0_sel:DWORD src1_sel:WORD_1
	v_fma_f16 v105, v115, v6, v105
	v_mul_f16_sdwa v115, v116, v7 dst_sel:DWORD dst_unused:UNUSED_PAD src0_sel:DWORD src1_sel:WORD_1
	v_fma_f16 v115, v56, v7, -v115
	v_mul_f16_sdwa v56, v56, v7 dst_sel:DWORD dst_unused:UNUSED_PAD src0_sel:DWORD src1_sel:WORD_1
	v_fma_f16 v56, v116, v7, v56
	s_waitcnt vmcnt(2)
	v_mul_f16_sdwa v116, v117, v37 dst_sel:DWORD dst_unused:UNUSED_PAD src0_sel:DWORD src1_sel:WORD_1
	v_fma_f16 v116, v107, v37, -v116
	v_mul_f16_sdwa v107, v107, v37 dst_sel:DWORD dst_unused:UNUSED_PAD src0_sel:DWORD src1_sel:WORD_1
	v_fma_f16 v107, v117, v37, v107
	v_mul_f16_sdwa v117, v118, v38 dst_sel:DWORD dst_unused:UNUSED_PAD src0_sel:DWORD src1_sel:WORD_1
	v_fma_f16 v117, v60, v38, -v117
	v_mul_f16_sdwa v60, v60, v38 dst_sel:DWORD dst_unused:UNUSED_PAD src0_sel:DWORD src1_sel:WORD_1
	v_fma_f16 v60, v118, v38, v60
	;; [unrolled: 26-line block ×3, first 2 shown]
	v_add_f16_e32 v125, v126, v111
	v_add_f16_e32 v127, v41, v59
	v_sub_f16_e32 v111, v126, v111
	v_sub_f16_e32 v41, v41, v59
	v_add_f16_e32 v59, v48, v110
	v_add_f16_e32 v126, v51, v58
	v_sub_f16_e32 v48, v48, v110
	v_sub_f16_e32 v51, v51, v58
	v_add_f16_e32 v58, v64, v109
	v_add_f16_e32 v110, v54, v55
	v_sub_f16_e32 v64, v109, v64
	v_sub_f16_e32 v54, v55, v54
	v_add_f16_e32 v55, v59, v125
	v_add_f16_e32 v109, v126, v127
	v_sub_f16_e32 v128, v59, v125
	v_sub_f16_e32 v129, v126, v127
	v_sub_f16_e32 v125, v125, v58
	v_sub_f16_e32 v127, v127, v110
	;; [unrolled: 1-line block ×4, first 2 shown]
	v_add_f16_e32 v130, v64, v48
	v_add_f16_e32 v131, v54, v51
	v_sub_f16_e32 v132, v64, v48
	v_sub_f16_e32 v133, v54, v51
	;; [unrolled: 1-line block ×4, first 2 shown]
	v_add_f16_e32 v55, v58, v55
	v_add_f16_e32 v58, v110, v109
	v_sub_f16_e32 v64, v111, v64
	v_sub_f16_e32 v54, v41, v54
	v_add_f16_e32 v109, v130, v111
	v_add_f16_e32 v41, v131, v41
	;; [unrolled: 1-line block ×3, first 2 shown]
	v_add_f16_sdwa v49, v49, v58 dst_sel:DWORD dst_unused:UNUSED_PAD src0_sel:WORD_1 src1_sel:DWORD
	v_mul_f16_e32 v110, 0x3a52, v125
	v_mul_f16_e32 v125, 0x3a52, v127
	;; [unrolled: 1-line block ×8, first 2 shown]
	v_fma_f16 v55, v55, s2, v111
	v_fma_f16 v58, v58, s2, v49
	;; [unrolled: 1-line block ×4, first 2 shown]
	v_fma_f16 v127, v128, s3, -v127
	v_fma_f16 v130, v129, s3, -v130
	;; [unrolled: 1-line block ×4, first 2 shown]
	v_fma_f16 v128, v64, s5, v131
	v_fma_f16 v129, v54, s5, v132
	v_fma_f16 v48, v48, s1, -v131
	v_fma_f16 v51, v51, s1, -v132
	;; [unrolled: 1-line block ×4, first 2 shown]
	v_add_f16_e32 v59, v59, v55
	v_add_f16_e32 v126, v126, v58
	v_add_f16_e32 v127, v127, v55
	v_add_f16_e32 v130, v130, v58
	v_add_f16_e32 v55, v110, v55
	v_add_f16_e32 v58, v125, v58
	v_fma_f16 v110, v109, s13, v128
	v_fma_f16 v125, v41, s13, v129
	;; [unrolled: 1-line block ×6, first 2 shown]
	v_sub_f16_e32 v128, v126, v110
	v_add_f16_e32 v129, v41, v55
	v_sub_f16_e32 v131, v58, v64
	v_sub_f16_e32 v132, v127, v51
	v_add_f16_e32 v133, v48, v130
	v_add_f16_e32 v51, v51, v127
	v_sub_f16_e32 v127, v130, v48
	v_sub_f16_e32 v55, v55, v41
	v_add_f16_e32 v58, v64, v58
	v_add_f16_e32 v64, v110, v126
	v_add_f16_e32 v41, v112, v117
	v_add_f16_e32 v48, v61, v60
	v_sub_f16_e32 v60, v61, v60
	v_add_f16_e32 v61, v113, v116
	v_add_f16_e32 v110, v52, v107
	v_sub_f16_e32 v109, v112, v117
	v_sub_f16_e32 v112, v113, v116
	;; [unrolled: 1-line block ×3, first 2 shown]
	v_add_f16_e32 v107, v114, v115
	v_add_f16_e32 v113, v105, v56
	v_sub_f16_e32 v114, v115, v114
	v_sub_f16_e32 v56, v56, v105
	v_add_f16_e32 v105, v61, v41
	v_add_f16_e32 v115, v110, v48
	;; [unrolled: 1-line block ×3, first 2 shown]
	v_sub_f16_e32 v59, v59, v125
	v_sub_f16_e32 v116, v61, v41
	;; [unrolled: 1-line block ×7, first 2 shown]
	v_add_f16_e32 v125, v114, v112
	v_add_f16_e32 v126, v56, v52
	v_sub_f16_e32 v130, v114, v112
	v_sub_f16_e32 v134, v56, v52
	;; [unrolled: 1-line block ×4, first 2 shown]
	v_add_f16_e32 v105, v107, v105
	v_add_f16_e32 v107, v113, v115
	v_sub_f16_e32 v114, v109, v114
	v_sub_f16_e32 v56, v60, v56
	v_add_f16_e32 v109, v125, v109
	v_add_f16_e32 v60, v126, v60
	;; [unrolled: 1-line block ×3, first 2 shown]
	v_add_f16_sdwa v50, v50, v107 dst_sel:DWORD dst_unused:UNUSED_PAD src0_sel:WORD_1 src1_sel:DWORD
	v_mul_f16_e32 v41, 0x3a52, v41
	v_mul_f16_e32 v48, 0x3a52, v48
	;; [unrolled: 1-line block ×8, first 2 shown]
	v_fma_f16 v105, v105, s2, v113
	v_fma_f16 v107, v107, s2, v50
	;; [unrolled: 1-line block ×4, first 2 shown]
	v_fma_f16 v115, v116, s3, -v115
	v_fma_f16 v125, v117, s3, -v125
	;; [unrolled: 1-line block ×4, first 2 shown]
	v_fma_f16 v116, v114, s5, v126
	v_fma_f16 v117, v56, s5, v130
	v_fma_f16 v112, v112, s1, -v126
	v_fma_f16 v52, v52, s1, -v130
	;; [unrolled: 1-line block ×4, first 2 shown]
	v_add_f16_e32 v61, v61, v105
	v_add_f16_e32 v110, v110, v107
	;; [unrolled: 1-line block ×6, first 2 shown]
	v_fma_f16 v105, v109, s13, v116
	v_fma_f16 v107, v60, s13, v117
	;; [unrolled: 1-line block ×6, first 2 shown]
	v_add_f16_e32 v60, v107, v61
	v_sub_f16_e32 v114, v110, v105
	v_add_f16_e32 v116, v56, v41
	v_sub_f16_e32 v117, v48, v109
	v_sub_f16_e32 v126, v115, v52
	v_add_f16_e32 v52, v52, v115
	v_sub_f16_e32 v56, v41, v56
	v_add_f16_e32 v115, v109, v48
	;; [unrolled: 2-line block ×3, first 2 shown]
	v_add_f16_e32 v41, v118, v124
	v_add_f16_e32 v48, v62, v120
	;; [unrolled: 1-line block ×4, first 2 shown]
	v_sub_f16_e32 v105, v118, v124
	v_sub_f16_e32 v62, v62, v120
	;; [unrolled: 1-line block ×4, first 2 shown]
	v_add_f16_e32 v108, v121, v122
	v_add_f16_e32 v119, v106, v57
	v_sub_f16_e32 v120, v122, v121
	v_sub_f16_e32 v57, v57, v106
	v_add_f16_e32 v106, v109, v41
	v_add_f16_e32 v121, v110, v48
	;; [unrolled: 1-line block ×3, first 2 shown]
	v_sub_f16_e32 v112, v125, v112
	v_sub_f16_e32 v122, v109, v41
	;; [unrolled: 1-line block ×7, first 2 shown]
	v_add_f16_e32 v124, v120, v118
	v_add_f16_e32 v125, v57, v53
	v_sub_f16_e32 v134, v120, v118
	v_sub_f16_e32 v135, v57, v53
	v_sub_f16_e32 v118, v118, v105
	v_add_f16_e32 v106, v108, v106
	v_add_f16_e32 v108, v119, v121
	v_sub_f16_e32 v120, v105, v120
	v_sub_f16_e32 v57, v62, v57
	;; [unrolled: 1-line block ×3, first 2 shown]
	v_add_f16_e32 v105, v124, v105
	v_add_f16_e32 v62, v125, v62
	;; [unrolled: 1-line block ×3, first 2 shown]
	v_add_f16_sdwa v121, v47, v108 dst_sel:DWORD dst_unused:UNUSED_PAD src0_sel:WORD_1 src1_sel:DWORD
	v_mul_f16_e32 v41, 0x3a52, v41
	v_mul_f16_e32 v47, 0x3a52, v48
	;; [unrolled: 1-line block ×8, first 2 shown]
	v_fma_f16 v106, v106, s2, v119
	v_fma_f16 v108, v108, s2, v121
	;; [unrolled: 1-line block ×4, first 2 shown]
	v_fma_f16 v48, v122, s3, -v48
	v_fma_f16 v124, v123, s3, -v124
	;; [unrolled: 1-line block ×4, first 2 shown]
	v_fma_f16 v122, v120, s5, v125
	v_fma_f16 v118, v118, s1, -v125
	v_fma_f16 v53, v53, s1, -v134
	;; [unrolled: 1-line block ×3, first 2 shown]
	v_add_f16_e32 v125, v109, v106
	v_add_f16_e32 v110, v110, v108
	;; [unrolled: 1-line block ×4, first 2 shown]
	v_fma_f16 v108, v105, s13, v118
	v_fma_f16 v47, v62, s13, v53
	;; [unrolled: 1-line block ×4, first 2 shown]
	v_add_f16_e32 v48, v48, v106
	v_add_f16_e32 v41, v41, v106
	v_sub_f16_e32 v134, v124, v53
	v_add_f16_e32 v106, v108, v109
	v_sub_f16_e32 v108, v109, v108
	v_add_f16_e32 v109, v53, v124
	v_pack_b32_f16 v53, v54, v128
	v_pack_b32_f16 v54, v129, v131
	v_fma_f16 v57, v57, s12, -v136
	v_fma_f16 v122, v105, s13, v122
	v_fma_f16 v123, v62, s13, v123
	ds_write2_b32 v65, v53, v54 offset0:51 offset1:102
	v_pack_b32_f16 v53, v132, v133
	v_pack_b32_f16 v51, v51, v127
	v_fma_f16 v57, v62, s13, v57
	v_add_f16_e32 v62, v123, v125
	v_sub_f16_e32 v118, v110, v122
	v_pack_b32_f16 v49, v111, v49
	ds_write2_b32 v65, v53, v51 offset0:153 offset1:204
	v_pack_b32_f16 v51, v55, v58
	v_pack_b32_f16 v53, v59, v64
	v_add_u32_e32 v59, 0x200, v65
	v_pack_b32_f16 v50, v113, v50
	v_pack_b32_f16 v54, v119, v121
	v_add_f16_e32 v120, v57, v41
	ds_write2_b32 v59, v51, v53 offset0:127 offset1:178
	ds_write2_b32 v65, v49, v50 offset1:17
	v_lshl_add_u32 v111, v45, 2, v44
	v_pack_b32_f16 v45, v60, v114
	ds_write_b32 v65, v54 offset:136
	v_pack_b32_f16 v54, v62, v118
	v_sub_f16_e32 v105, v48, v47
	v_pack_b32_f16 v49, v116, v117
	ds_write2_b32 v111, v45, v54 offset0:68 offset1:85
	v_pack_b32_f16 v45, v120, v134
	v_add_f16_e32 v47, v47, v48
	v_pack_b32_f16 v50, v126, v130
	ds_write2_b32 v111, v49, v45 offset0:119 offset1:136
	v_pack_b32_f16 v45, v105, v106
	v_sub_f16_e32 v48, v41, v57
	v_pack_b32_f16 v51, v52, v112
	ds_write2_b32 v111, v50, v45 offset0:170 offset1:187
	v_pack_b32_f16 v45, v47, v108
	v_sub_f16_e32 v41, v125, v123
	v_add_f16_e32 v110, v122, v110
	v_pack_b32_f16 v52, v56, v115
	ds_write2_b32 v111, v51, v45 offset0:221 offset1:238
	v_pack_b32_f16 v45, v48, v109
	v_add_u32_e32 v49, 0x400, v111
	v_pack_b32_f16 v53, v61, v107
	ds_write2_b32 v49, v52, v45 offset0:16 offset1:33
	v_pack_b32_f16 v45, v41, v110
	ds_write2_b32 v49, v53, v45 offset0:67 offset1:84
	s_waitcnt lgkmcnt(0)
	s_barrier
	global_load_dword v45, v[12:13], off offset:1428
	s_add_u32 s0, s14, 0x594
	s_addc_u32 s1, s15, 0
	global_load_dword v53, v44, s[0:1] offset:84
	global_load_dword v54, v44, s[0:1] offset:168
	;; [unrolled: 1-line block ×9, first 2 shown]
	ds_read2_b32 v[49:50], v65 offset1:21
	global_load_dword v64, v44, s[0:1] offset:840
	global_load_dword v107, v44, s[0:1] offset:924
	;; [unrolled: 1-line block ×3, first 2 shown]
	s_waitcnt lgkmcnt(0)
	v_lshrrev_b32_e32 v51, 16, v49
	s_waitcnt vmcnt(12)
	v_mul_f16_sdwa v52, v51, v45 dst_sel:DWORD dst_unused:UNUSED_PAD src0_sel:DWORD src1_sel:WORD_1
	v_fma_f16 v52, v49, v45, -v52
	v_mul_f16_sdwa v49, v49, v45 dst_sel:DWORD dst_unused:UNUSED_PAD src0_sel:DWORD src1_sel:WORD_1
	v_fma_f16 v45, v51, v45, v49
	v_lshrrev_b32_e32 v49, 16, v50
	s_waitcnt vmcnt(11)
	v_mul_f16_sdwa v51, v49, v53 dst_sel:DWORD dst_unused:UNUSED_PAD src0_sel:DWORD src1_sel:WORD_1
	v_pack_b32_f16 v45, v52, v45
	v_fma_f16 v112, v50, v53, -v51
	ds_read2_b32 v[51:52], v65 offset0:42 offset1:63
	v_mul_f16_sdwa v50, v50, v53 dst_sel:DWORD dst_unused:UNUSED_PAD src0_sel:DWORD src1_sel:WORD_1
	v_fma_f16 v49, v49, v53, v50
	global_load_dword v53, v44, s[0:1] offset:1092
	v_pack_b32_f16 v49, v112, v49
	ds_write2_b32 v65, v45, v49 offset1:21
	s_waitcnt lgkmcnt(1)
	v_lshrrev_b32_e32 v45, 16, v51
	s_waitcnt vmcnt(11)
	v_mul_f16_sdwa v49, v45, v54 dst_sel:DWORD dst_unused:UNUSED_PAD src0_sel:DWORD src1_sel:WORD_1
	v_mul_f16_sdwa v50, v51, v54 dst_sel:DWORD dst_unused:UNUSED_PAD src0_sel:DWORD src1_sel:WORD_1
	v_fma_f16 v49, v51, v54, -v49
	v_fma_f16 v45, v45, v54, v50
	global_load_dword v54, v44, s[0:1] offset:1176
	v_lshrrev_b32_e32 v51, 16, v52
	v_pack_b32_f16 v45, v49, v45
	s_waitcnt vmcnt(11)
	v_mul_f16_sdwa v49, v51, v55 dst_sel:DWORD dst_unused:UNUSED_PAD src0_sel:DWORD src1_sel:WORD_1
	v_fma_f16 v112, v52, v55, -v49
	ds_read2_b32 v[49:50], v65 offset0:84 offset1:105
	v_mul_f16_sdwa v52, v52, v55 dst_sel:DWORD dst_unused:UNUSED_PAD src0_sel:DWORD src1_sel:WORD_1
	v_fma_f16 v51, v51, v55, v52
	global_load_dword v55, v44, s[0:1] offset:1260
	v_pack_b32_f16 v51, v112, v51
	ds_write2_b32 v65, v45, v51 offset0:42 offset1:63
	s_waitcnt lgkmcnt(1)
	v_lshrrev_b32_e32 v45, 16, v49
	s_waitcnt vmcnt(11)
	v_mul_f16_sdwa v51, v45, v56 dst_sel:DWORD dst_unused:UNUSED_PAD src0_sel:DWORD src1_sel:WORD_1
	v_fma_f16 v51, v49, v56, -v51
	v_mul_f16_sdwa v49, v49, v56 dst_sel:DWORD dst_unused:UNUSED_PAD src0_sel:DWORD src1_sel:WORD_1
	v_fma_f16 v45, v45, v56, v49
	global_load_dword v56, v44, s[0:1] offset:1344
	v_lshrrev_b32_e32 v49, 16, v50
	v_pack_b32_f16 v45, v51, v45
	s_waitcnt vmcnt(11)
	v_mul_f16_sdwa v51, v49, v57 dst_sel:DWORD dst_unused:UNUSED_PAD src0_sel:DWORD src1_sel:WORD_1
	v_fma_f16 v112, v50, v57, -v51
	ds_read2_b32 v[51:52], v65 offset0:126 offset1:147
	v_mul_f16_sdwa v50, v50, v57 dst_sel:DWORD dst_unused:UNUSED_PAD src0_sel:DWORD src1_sel:WORD_1
	v_fma_f16 v49, v49, v57, v50
	v_pack_b32_f16 v49, v112, v49
	ds_write2_b32 v65, v45, v49 offset0:84 offset1:105
	s_waitcnt lgkmcnt(1)
	v_lshrrev_b32_e32 v45, 16, v51
	s_waitcnt vmcnt(10)
	v_mul_f16_sdwa v49, v45, v58 dst_sel:DWORD dst_unused:UNUSED_PAD src0_sel:DWORD src1_sel:WORD_1
	v_mul_f16_sdwa v50, v51, v58 dst_sel:DWORD dst_unused:UNUSED_PAD src0_sel:DWORD src1_sel:WORD_1
	v_fma_f16 v49, v51, v58, -v49
	v_fma_f16 v45, v45, v58, v50
	v_lshrrev_b32_e32 v51, 16, v52
	v_pack_b32_f16 v45, v49, v45
	s_waitcnt vmcnt(9)
	v_mul_f16_sdwa v49, v51, v60 dst_sel:DWORD dst_unused:UNUSED_PAD src0_sel:DWORD src1_sel:WORD_1
	v_fma_f16 v57, v52, v60, -v49
	ds_read2_b32 v[49:50], v65 offset0:168 offset1:189
	v_mul_f16_sdwa v52, v52, v60 dst_sel:DWORD dst_unused:UNUSED_PAD src0_sel:DWORD src1_sel:WORD_1
	v_fma_f16 v51, v51, v60, v52
	v_pack_b32_f16 v51, v57, v51
	ds_write2_b32 v65, v45, v51 offset0:126 offset1:147
	s_waitcnt lgkmcnt(1)
	v_lshrrev_b32_e32 v45, 16, v49
	s_waitcnt vmcnt(8)
	v_mul_f16_sdwa v51, v45, v61 dst_sel:DWORD dst_unused:UNUSED_PAD src0_sel:DWORD src1_sel:WORD_1
	v_fma_f16 v51, v49, v61, -v51
	v_mul_f16_sdwa v49, v49, v61 dst_sel:DWORD dst_unused:UNUSED_PAD src0_sel:DWORD src1_sel:WORD_1
	v_fma_f16 v45, v45, v61, v49
	v_lshrrev_b32_e32 v49, 16, v50
	v_pack_b32_f16 v45, v51, v45
	s_waitcnt vmcnt(7)
	v_mul_f16_sdwa v51, v49, v62 dst_sel:DWORD dst_unused:UNUSED_PAD src0_sel:DWORD src1_sel:WORD_1
	v_fma_f16 v57, v50, v62, -v51
	ds_read2_b32 v[51:52], v65 offset0:210 offset1:231
	v_mul_f16_sdwa v50, v50, v62 dst_sel:DWORD dst_unused:UNUSED_PAD src0_sel:DWORD src1_sel:WORD_1
	v_fma_f16 v49, v49, v62, v50
	v_pack_b32_f16 v49, v57, v49
	ds_write2_b32 v65, v45, v49 offset0:168 offset1:189
	s_waitcnt lgkmcnt(1)
	v_lshrrev_b32_e32 v45, 16, v51
	s_waitcnt vmcnt(6)
	v_mul_f16_sdwa v49, v45, v64 dst_sel:DWORD dst_unused:UNUSED_PAD src0_sel:DWORD src1_sel:WORD_1
	v_mul_f16_sdwa v50, v51, v64 dst_sel:DWORD dst_unused:UNUSED_PAD src0_sel:DWORD src1_sel:WORD_1
	v_fma_f16 v49, v51, v64, -v49
	v_fma_f16 v45, v45, v64, v50
	v_lshrrev_b32_e32 v51, 16, v52
	v_pack_b32_f16 v45, v49, v45
	s_waitcnt vmcnt(5)
	v_mul_f16_sdwa v49, v51, v107 dst_sel:DWORD dst_unused:UNUSED_PAD src0_sel:DWORD src1_sel:WORD_1
	v_fma_f16 v57, v52, v107, -v49
	ds_read2_b32 v[49:50], v59 offset0:124 offset1:145
	v_mul_f16_sdwa v52, v52, v107 dst_sel:DWORD dst_unused:UNUSED_PAD src0_sel:DWORD src1_sel:WORD_1
	v_fma_f16 v51, v51, v107, v52
	v_pack_b32_f16 v51, v57, v51
	ds_write2_b32 v65, v45, v51 offset0:210 offset1:231
	s_waitcnt lgkmcnt(1)
	v_lshrrev_b32_e32 v45, 16, v49
	s_waitcnt vmcnt(4)
	v_mul_f16_sdwa v51, v45, v113 dst_sel:DWORD dst_unused:UNUSED_PAD src0_sel:DWORD src1_sel:WORD_1
	v_fma_f16 v51, v49, v113, -v51
	v_mul_f16_sdwa v49, v49, v113 dst_sel:DWORD dst_unused:UNUSED_PAD src0_sel:DWORD src1_sel:WORD_1
	v_fma_f16 v45, v45, v113, v49
	v_lshrrev_b32_e32 v49, 16, v50
	v_pack_b32_f16 v45, v51, v45
	s_waitcnt vmcnt(3)
	v_mul_f16_sdwa v51, v49, v53 dst_sel:DWORD dst_unused:UNUSED_PAD src0_sel:DWORD src1_sel:WORD_1
	v_fma_f16 v57, v50, v53, -v51
	ds_read2_b32 v[51:52], v63 offset0:38 offset1:59
	v_mul_f16_sdwa v50, v50, v53 dst_sel:DWORD dst_unused:UNUSED_PAD src0_sel:DWORD src1_sel:WORD_1
	v_fma_f16 v49, v49, v53, v50
	v_pack_b32_f16 v49, v57, v49
	ds_write2_b32 v59, v45, v49 offset0:124 offset1:145
	s_waitcnt lgkmcnt(1)
	v_lshrrev_b32_e32 v45, 16, v51
	s_waitcnt vmcnt(2)
	v_mul_f16_sdwa v49, v45, v54 dst_sel:DWORD dst_unused:UNUSED_PAD src0_sel:DWORD src1_sel:WORD_1
	v_mul_f16_sdwa v50, v51, v54 dst_sel:DWORD dst_unused:UNUSED_PAD src0_sel:DWORD src1_sel:WORD_1
	v_fma_f16 v49, v51, v54, -v49
	v_fma_f16 v45, v45, v54, v50
	v_pack_b32_f16 v45, v49, v45
	v_lshrrev_b32_e32 v49, 16, v52
	ds_read_b32 v51, v65 offset:1344
	s_waitcnt vmcnt(1)
	v_mul_f16_sdwa v50, v49, v55 dst_sel:DWORD dst_unused:UNUSED_PAD src0_sel:DWORD src1_sel:WORD_1
	v_fma_f16 v50, v52, v55, -v50
	v_mul_f16_sdwa v52, v52, v55 dst_sel:DWORD dst_unused:UNUSED_PAD src0_sel:DWORD src1_sel:WORD_1
	v_fma_f16 v49, v49, v55, v52
	v_pack_b32_f16 v49, v50, v49
	ds_write2_b32 v63, v45, v49 offset0:38 offset1:59
	s_waitcnt lgkmcnt(1)
	v_lshrrev_b32_e32 v45, 16, v51
	s_waitcnt vmcnt(0)
	v_mul_f16_sdwa v49, v45, v56 dst_sel:DWORD dst_unused:UNUSED_PAD src0_sel:DWORD src1_sel:WORD_1
	v_mul_f16_sdwa v50, v51, v56 dst_sel:DWORD dst_unused:UNUSED_PAD src0_sel:DWORD src1_sel:WORD_1
	v_fma_f16 v49, v51, v56, -v49
	v_fma_f16 v45, v45, v56, v50
	v_pack_b32_f16 v45, v49, v45
	ds_write_b32 v65, v45 offset:1344
	s_and_saveexec_b64 s[2:3], vcc
	s_cbranch_execz .LBB0_9
; %bb.8:
	v_mov_b32_e32 v45, s1
	v_add_co_u32_e64 v44, s[0:1], s0, v44
	v_addc_co_u32_e64 v45, s[0:1], 0, v45, s[0:1]
	global_load_dword v60, v[44:45], off offset:68
	global_load_dword v61, v[44:45], off offset:152
	;; [unrolled: 1-line block ×11, first 2 shown]
	ds_read2_b32 v[49:50], v65 offset0:17 offset1:38
	ds_read2_b32 v[51:52], v65 offset0:59 offset1:80
	;; [unrolled: 1-line block ×4, first 2 shown]
	global_load_dword v118, v[44:45], off offset:992
	ds_read2_b32 v[57:58], v65 offset0:185 offset1:206
	global_load_dword v119, v[44:45], off offset:1076
	global_load_dword v120, v[44:45], off offset:1160
	global_load_dword v121, v[44:45], off offset:1244
	global_load_dword v122, v[44:45], off offset:1328
	global_load_dword v123, v[44:45], off offset:1412
	s_waitcnt lgkmcnt(4)
	v_lshrrev_b32_e32 v44, 16, v49
	v_lshrrev_b32_e32 v45, 16, v50
	s_waitcnt lgkmcnt(3)
	v_lshrrev_b32_e32 v124, 16, v51
	v_lshrrev_b32_e32 v125, 16, v52
	;; [unrolled: 3-line block ×5, first 2 shown]
	s_waitcnt vmcnt(16)
	v_mul_f16_sdwa v132, v44, v60 dst_sel:DWORD dst_unused:UNUSED_PAD src0_sel:DWORD src1_sel:WORD_1
	v_mul_f16_sdwa v133, v49, v60 dst_sel:DWORD dst_unused:UNUSED_PAD src0_sel:DWORD src1_sel:WORD_1
	s_waitcnt vmcnt(15)
	v_mul_f16_sdwa v134, v45, v61 dst_sel:DWORD dst_unused:UNUSED_PAD src0_sel:DWORD src1_sel:WORD_1
	v_mul_f16_sdwa v135, v50, v61 dst_sel:DWORD dst_unused:UNUSED_PAD src0_sel:DWORD src1_sel:WORD_1
	;; [unrolled: 3-line block ×8, first 2 shown]
	v_fma_f16 v49, v49, v60, -v132
	v_fma_f16 v44, v44, v60, v133
	v_fma_f16 v50, v50, v61, -v134
	v_fma_f16 v45, v45, v61, v135
	;; [unrolled: 2-line block ×8, first 2 shown]
	v_pack_b32_f16 v44, v49, v44
	v_pack_b32_f16 v45, v50, v45
	v_pack_b32_f16 v49, v51, v60
	v_pack_b32_f16 v50, v52, v61
	v_pack_b32_f16 v51, v53, v62
	v_pack_b32_f16 v52, v54, v64
	v_pack_b32_f16 v53, v55, v107
	v_pack_b32_f16 v54, v56, v112
	ds_write2_b32 v65, v44, v45 offset0:17 offset1:38
	ds_write2_b32 v65, v49, v50 offset0:59 offset1:80
	;; [unrolled: 1-line block ×4, first 2 shown]
	s_waitcnt vmcnt(7)
	v_mul_f16_sdwa v44, v131, v116 dst_sel:DWORD dst_unused:UNUSED_PAD src0_sel:DWORD src1_sel:WORD_1
	v_fma_f16 v49, v58, v116, -v44
	ds_read2_b32 v[44:45], v65 offset0:227 offset1:248
	v_mul_f16_sdwa v148, v130, v115 dst_sel:DWORD dst_unused:UNUSED_PAD src0_sel:DWORD src1_sel:WORD_1
	v_mul_f16_sdwa v149, v57, v115 dst_sel:DWORD dst_unused:UNUSED_PAD src0_sel:DWORD src1_sel:WORD_1
	;; [unrolled: 1-line block ×3, first 2 shown]
	v_fma_f16 v57, v57, v115, -v148
	v_fma_f16 v113, v130, v115, v149
	v_fma_f16 v50, v131, v116, v50
	v_pack_b32_f16 v55, v57, v113
	v_pack_b32_f16 v49, v49, v50
	ds_write2_b32 v65, v55, v49 offset0:185 offset1:206
	s_waitcnt lgkmcnt(1)
	v_lshrrev_b32_e32 v49, 16, v44
	s_waitcnt vmcnt(6)
	v_mul_f16_sdwa v50, v49, v117 dst_sel:DWORD dst_unused:UNUSED_PAD src0_sel:DWORD src1_sel:WORD_1
	v_fma_f16 v50, v44, v117, -v50
	v_mul_f16_sdwa v44, v44, v117 dst_sel:DWORD dst_unused:UNUSED_PAD src0_sel:DWORD src1_sel:WORD_1
	v_lshrrev_b32_e32 v51, 16, v45
	v_fma_f16 v44, v49, v117, v44
	s_waitcnt vmcnt(5)
	v_mul_f16_sdwa v49, v51, v118 dst_sel:DWORD dst_unused:UNUSED_PAD src0_sel:DWORD src1_sel:WORD_1
	v_pack_b32_f16 v44, v50, v44
	v_fma_f16 v52, v45, v118, -v49
	ds_read2_b32 v[49:50], v63 offset0:13 offset1:34
	v_mul_f16_sdwa v45, v45, v118 dst_sel:DWORD dst_unused:UNUSED_PAD src0_sel:DWORD src1_sel:WORD_1
	v_fma_f16 v45, v51, v118, v45
	v_pack_b32_f16 v45, v52, v45
	ds_write2_b32 v65, v44, v45 offset0:227 offset1:248
	s_waitcnt lgkmcnt(1)
	v_lshrrev_b32_e32 v44, 16, v49
	s_waitcnt vmcnt(4)
	v_mul_f16_sdwa v45, v44, v119 dst_sel:DWORD dst_unused:UNUSED_PAD src0_sel:DWORD src1_sel:WORD_1
	v_fma_f16 v45, v49, v119, -v45
	v_mul_f16_sdwa v49, v49, v119 dst_sel:DWORD dst_unused:UNUSED_PAD src0_sel:DWORD src1_sel:WORD_1
	v_fma_f16 v44, v44, v119, v49
	v_lshrrev_b32_e32 v51, 16, v50
	v_pack_b32_f16 v49, v45, v44
	s_waitcnt vmcnt(3)
	v_mul_f16_sdwa v44, v51, v120 dst_sel:DWORD dst_unused:UNUSED_PAD src0_sel:DWORD src1_sel:WORD_1
	v_fma_f16 v52, v50, v120, -v44
	ds_read2_b32 v[44:45], v63 offset0:55 offset1:76
	v_mul_f16_sdwa v50, v50, v120 dst_sel:DWORD dst_unused:UNUSED_PAD src0_sel:DWORD src1_sel:WORD_1
	v_fma_f16 v50, v51, v120, v50
	v_pack_b32_f16 v50, v52, v50
	ds_write2_b32 v63, v49, v50 offset0:13 offset1:34
	s_waitcnt lgkmcnt(1)
	v_lshrrev_b32_e32 v49, 16, v44
	s_waitcnt vmcnt(2)
	v_mul_f16_sdwa v50, v49, v121 dst_sel:DWORD dst_unused:UNUSED_PAD src0_sel:DWORD src1_sel:WORD_1
	v_fma_f16 v50, v44, v121, -v50
	v_mul_f16_sdwa v44, v44, v121 dst_sel:DWORD dst_unused:UNUSED_PAD src0_sel:DWORD src1_sel:WORD_1
	v_fma_f16 v44, v49, v121, v44
	v_lshrrev_b32_e32 v49, 16, v45
	ds_read_b32 v51, v65 offset:1412
	v_pack_b32_f16 v44, v50, v44
	s_waitcnt vmcnt(1)
	v_mul_f16_sdwa v50, v49, v122 dst_sel:DWORD dst_unused:UNUSED_PAD src0_sel:DWORD src1_sel:WORD_1
	v_fma_f16 v50, v45, v122, -v50
	v_mul_f16_sdwa v45, v45, v122 dst_sel:DWORD dst_unused:UNUSED_PAD src0_sel:DWORD src1_sel:WORD_1
	v_fma_f16 v45, v49, v122, v45
	v_pack_b32_f16 v45, v50, v45
	ds_write2_b32 v63, v44, v45 offset0:55 offset1:76
	s_waitcnt lgkmcnt(1)
	v_lshrrev_b32_e32 v44, 16, v51
	s_waitcnt vmcnt(0)
	v_mul_f16_sdwa v45, v44, v123 dst_sel:DWORD dst_unused:UNUSED_PAD src0_sel:DWORD src1_sel:WORD_1
	v_mul_f16_sdwa v49, v51, v123 dst_sel:DWORD dst_unused:UNUSED_PAD src0_sel:DWORD src1_sel:WORD_1
	v_fma_f16 v45, v51, v123, -v45
	v_fma_f16 v44, v44, v123, v49
	v_pack_b32_f16 v44, v45, v44
	ds_write_b32 v65, v44 offset:1412
.LBB0_9:
	s_or_b64 exec, exec, s[2:3]
	s_waitcnt lgkmcnt(0)
	s_barrier
	ds_read2_b32 v[49:50], v65 offset1:21
	ds_read2_b32 v[61:62], v65 offset0:42 offset1:63
	ds_read2_b32 v[57:58], v65 offset0:84 offset1:105
	;; [unrolled: 1-line block ×7, first 2 shown]
	ds_read_b32 v112, v65 offset:1344
	v_lshrrev_b32_e32 v45, 16, v98
	s_and_saveexec_b64 s[0:1], vcc
	s_cbranch_execz .LBB0_11
; %bb.10:
	v_lshl_add_u32 v15, v66, 2, v84
	ds_read_b32 v105, v65 offset:68
	ds_read2_b32 v[47:48], v15 offset0:38 offset1:59
	ds_read2_b32 v[41:42], v15 offset0:80 offset1:101
	;; [unrolled: 1-line block ×5, first 2 shown]
	v_add_u32_e32 v16, 0x200, v15
	v_add_u32_e32 v15, 0x400, v15
	ds_read2_b32 v[21:22], v16 offset0:120 offset1:141
	ds_read2_b32 v[17:18], v15 offset0:34 offset1:55
	;; [unrolled: 1-line block ×3, first 2 shown]
	s_mov_b32 s2, 0xffff
	s_waitcnt lgkmcnt(8)
	v_lshrrev_b32_e32 v106, 16, v105
	s_waitcnt lgkmcnt(7)
	v_lshrrev_b32_e32 v108, 16, v47
	v_lshrrev_b32_e32 v109, 16, v48
	s_waitcnt lgkmcnt(6)
	v_lshrrev_b32_e32 v110, 16, v41
	;; [unrolled: 3-line block ×8, first 2 shown]
	v_bfi_b32 v97, s2, v44, v16
.LBB0_11:
	s_or_b64 exec, exec, s[0:1]
	v_add_u32_e32 v107, 0x44, v111
	v_add_u32_e32 v44, 0x88, v111
	s_waitcnt lgkmcnt(8)
	v_pk_add_f16 v111, v49, v50
	s_waitcnt lgkmcnt(7)
	v_pk_add_f16 v111, v111, v61
	v_pk_add_f16 v111, v111, v62
	s_waitcnt lgkmcnt(6)
	v_pk_add_f16 v111, v111, v57
	;; [unrolled: 3-line block ×8, first 2 shown]
	v_pk_add_f16 v113, v112, v50
	v_pk_add_f16 v112, v50, v112 neg_lo:[0,1] neg_hi:[0,1]
	s_mov_b32 s4, 0xb5c8
	v_pk_mul_f16 v111, v112, s4 op_sel_hi:[1,0]
	s_movk_i32 s2, 0x3b76
	s_mov_b32 s12, 0xb964
	v_pk_add_f16 v141, v61, v64 neg_lo:[0,1] neg_hi:[0,1]
	v_pk_fma_f16 v50, v113, s2, v111 op_sel:[0,0,1] op_sel_hi:[1,0,0]
	v_pk_fma_f16 v111, v113, s2, v111 op_sel:[0,0,1] op_sel_hi:[1,0,0] neg_lo:[0,0,1] neg_hi:[0,0,1]
	s_mov_b32 s0, 0xffff
	s_movk_i32 s3, 0x39e9
	v_pk_add_f16 v140, v64, v61
	v_pk_mul_f16 v64, v141, s12 op_sel_hi:[1,0]
	v_bfi_b32 v115, s0, v50, v111
	v_pk_fma_f16 v61, v140, s3, v64 op_sel:[0,0,1] op_sel_hi:[1,0,0]
	v_pk_fma_f16 v64, v140, s3, v64 op_sel:[0,0,1] op_sel_hi:[1,0,0] neg_lo:[0,0,1] neg_hi:[0,0,1]
	v_pk_add_f16 v115, v49, v115
	v_mul_f16_sdwa v116, v112, s12 dst_sel:DWORD dst_unused:UNUSED_PAD src0_sel:WORD_1 src1_sel:DWORD
	s_mov_b32 s16, 0xbbf7
	v_bfi_b32 v142, s0, v61, v64
	v_fma_f16 v117, v113, s3, v116
	s_movk_i32 s13, 0x2de8
	v_pk_add_f16 v115, v142, v115
	v_mul_f16_sdwa v142, v141, s16 dst_sel:DWORD dst_unused:UNUSED_PAD src0_sel:WORD_1 src1_sel:DWORD
	v_add_f16_e32 v117, v49, v117
	v_mul_f16_sdwa v118, v113, s3 dst_sel:DWORD dst_unused:UNUSED_PAD src0_sel:WORD_1 src1_sel:DWORD
	s_movk_i32 s23, 0x3964
	v_fma_f16 v116, v113, s3, -v116
	v_fma_f16 v143, v140, s13, v142
	v_fma_f16 v119, v112, s23, v118
	v_add_f16_e32 v116, v49, v116
	v_fma_f16 v118, v112, s12, v118
	s_mov_b32 s14, 0xbb29
	v_add_f16_e32 v117, v143, v117
	v_mul_f16_sdwa v143, v140, s13 dst_sel:DWORD dst_unused:UNUSED_PAD src0_sel:WORD_1 src1_sel:DWORD
	v_fma_f16 v142, v140, s13, -v142
	v_add_f16_sdwa v118, v49, v118 dst_sel:DWORD dst_unused:UNUSED_PAD src0_sel:WORD_1 src1_sel:DWORD
	v_mul_f16_sdwa v120, v112, s14 dst_sel:DWORD dst_unused:UNUSED_PAD src0_sel:WORD_1 src1_sel:DWORD
	s_movk_i32 s5, 0x3722
	s_mov_b32 s21, 0xba62
	v_add_f16_e32 v116, v142, v116
	v_fma_f16 v142, v141, s16, v143
	v_fma_f16 v121, v113, s5, v120
	s_movk_i32 s29, 0x3bf7
	s_mov_b32 s17, 0xb8d2
	v_add_f16_e32 v118, v142, v118
	v_mul_f16_sdwa v142, v141, s21 dst_sel:DWORD dst_unused:UNUSED_PAD src0_sel:WORD_1 src1_sel:DWORD
	v_add_f16_e32 v121, v49, v121
	v_mul_f16_sdwa v122, v113, s5 dst_sel:DWORD dst_unused:UNUSED_PAD src0_sel:WORD_1 src1_sel:DWORD
	s_movk_i32 s19, 0x3b29
	v_fma_f16 v120, v113, s5, -v120
	v_fma_f16 v144, v141, s29, v143
	v_fma_f16 v143, v140, s17, v142
	v_fma_f16 v123, v112, s19, v122
	v_add_f16_e32 v120, v49, v120
	v_fma_f16 v122, v112, s14, v122
	v_add_f16_e32 v121, v143, v121
	v_mul_f16_sdwa v143, v140, s17 dst_sel:DWORD dst_unused:UNUSED_PAD src0_sel:WORD_1 src1_sel:DWORD
	v_fma_f16 v142, v140, s17, -v142
	v_add_f16_sdwa v122, v49, v122 dst_sel:DWORD dst_unused:UNUSED_PAD src0_sel:WORD_1 src1_sel:DWORD
	v_mul_f16_sdwa v124, v112, s16 dst_sel:DWORD dst_unused:UNUSED_PAD src0_sel:WORD_1 src1_sel:DWORD
	v_add_f16_e32 v120, v142, v120
	v_fma_f16 v142, v141, s21, v143
	s_mov_b32 s26, 0xb1e1
	v_add_f16_sdwa v119, v49, v119 dst_sel:DWORD dst_unused:UNUSED_PAD src0_sel:WORD_1 src1_sel:DWORD
	v_fma_f16 v125, v113, s13, v124
	s_movk_i32 s28, 0x3a62
	v_add_f16_e32 v122, v142, v122
	v_mul_f16_sdwa v142, v141, s26 dst_sel:DWORD dst_unused:UNUSED_PAD src0_sel:WORD_1 src1_sel:DWORD
	s_mov_b32 s25, 0xbbdd
	v_add_f16_e32 v125, v49, v125
	v_mul_f16_sdwa v126, v113, s13 dst_sel:DWORD dst_unused:UNUSED_PAD src0_sel:WORD_1 src1_sel:DWORD
	v_fma_f16 v124, v113, s13, -v124
	v_add_f16_e32 v119, v144, v119
	v_fma_f16 v144, v141, s28, v143
	v_fma_f16 v143, v140, s25, v142
	;; [unrolled: 1-line block ×3, first 2 shown]
	v_add_f16_e32 v124, v49, v124
	v_fma_f16 v126, v112, s16, v126
	s_mov_b32 s18, 0xbbb2
	v_add_f16_e32 v125, v143, v125
	v_mul_f16_sdwa v143, v140, s25 dst_sel:DWORD dst_unused:UNUSED_PAD src0_sel:WORD_1 src1_sel:DWORD
	v_fma_f16 v142, v140, s25, -v142
	v_add_f16_sdwa v126, v49, v126 dst_sel:DWORD dst_unused:UNUSED_PAD src0_sel:WORD_1 src1_sel:DWORD
	v_mul_f16_sdwa v128, v112, s18 dst_sel:DWORD dst_unused:UNUSED_PAD src0_sel:WORD_1 src1_sel:DWORD
	s_mov_b32 s15, 0xb461
	s_movk_i32 s27, 0x3836
	v_add_f16_e32 v124, v142, v124
	v_fma_f16 v142, v141, s26, v143
	v_add_f16_sdwa v123, v49, v123 dst_sel:DWORD dst_unused:UNUSED_PAD src0_sel:WORD_1 src1_sel:DWORD
	v_fma_f16 v129, v113, s15, v128
	s_mov_b32 s20, 0xbacd
	s_movk_i32 s30, 0x31e1
	v_add_f16_e32 v126, v142, v126
	v_mul_f16_sdwa v142, v141, s27 dst_sel:DWORD dst_unused:UNUSED_PAD src0_sel:WORD_1 src1_sel:DWORD
	v_add_f16_e32 v129, v49, v129
	v_mul_f16_sdwa v130, v113, s15 dst_sel:DWORD dst_unused:UNUSED_PAD src0_sel:WORD_1 src1_sel:DWORD
	s_movk_i32 s24, 0x3bb2
	v_fma_f16 v128, v113, s15, -v128
	v_add_f16_e32 v123, v144, v123
	v_fma_f16 v144, v141, s30, v143
	v_fma_f16 v143, v140, s20, v142
	;; [unrolled: 1-line block ×3, first 2 shown]
	v_add_f16_e32 v128, v49, v128
	v_fma_f16 v130, v112, s18, v130
	v_add_f16_e32 v129, v143, v129
	v_mul_f16_sdwa v143, v140, s20 dst_sel:DWORD dst_unused:UNUSED_PAD src0_sel:WORD_1 src1_sel:DWORD
	v_fma_f16 v142, v140, s20, -v142
	v_add_f16_sdwa v130, v49, v130 dst_sel:DWORD dst_unused:UNUSED_PAD src0_sel:WORD_1 src1_sel:DWORD
	v_mul_f16_sdwa v132, v112, s21 dst_sel:DWORD dst_unused:UNUSED_PAD src0_sel:WORD_1 src1_sel:DWORD
	v_add_f16_e32 v128, v142, v128
	v_fma_f16 v142, v141, s27, v143
	v_add_f16_sdwa v127, v49, v127 dst_sel:DWORD dst_unused:UNUSED_PAD src0_sel:WORD_1 src1_sel:DWORD
	v_fma_f16 v133, v113, s17, v132
	s_mov_b32 s22, 0xb836
	v_add_f16_e32 v130, v142, v130
	v_mul_f16_sdwa v142, v141, s24 dst_sel:DWORD dst_unused:UNUSED_PAD src0_sel:WORD_1 src1_sel:DWORD
	v_add_f16_e32 v133, v49, v133
	v_mul_f16_sdwa v134, v113, s17 dst_sel:DWORD dst_unused:UNUSED_PAD src0_sel:WORD_1 src1_sel:DWORD
	v_fma_f16 v132, v113, s17, -v132
	v_add_f16_e32 v127, v144, v127
	v_fma_f16 v144, v141, s22, v143
	v_fma_f16 v143, v140, s15, v142
	;; [unrolled: 1-line block ×3, first 2 shown]
	v_add_f16_e32 v132, v49, v132
	v_fma_f16 v134, v112, s21, v134
	v_add_f16_e32 v133, v143, v133
	v_mul_f16_sdwa v143, v140, s15 dst_sel:DWORD dst_unused:UNUSED_PAD src0_sel:WORD_1 src1_sel:DWORD
	v_fma_f16 v142, v140, s15, -v142
	v_add_f16_sdwa v134, v49, v134 dst_sel:DWORD dst_unused:UNUSED_PAD src0_sel:WORD_1 src1_sel:DWORD
	v_mul_f16_sdwa v136, v112, s22 dst_sel:DWORD dst_unused:UNUSED_PAD src0_sel:WORD_1 src1_sel:DWORD
	v_add_f16_e32 v132, v142, v132
	v_fma_f16 v142, v141, s24, v143
	v_add_f16_sdwa v131, v49, v131 dst_sel:DWORD dst_unused:UNUSED_PAD src0_sel:WORD_1 src1_sel:DWORD
	v_fma_f16 v137, v113, s20, v136
	v_add_f16_e32 v134, v142, v134
	v_mul_f16_sdwa v142, v141, s19 dst_sel:DWORD dst_unused:UNUSED_PAD src0_sel:WORD_1 src1_sel:DWORD
	v_add_f16_e32 v137, v49, v137
	v_mul_f16_sdwa v138, v113, s20 dst_sel:DWORD dst_unused:UNUSED_PAD src0_sel:WORD_1 src1_sel:DWORD
	v_fma_f16 v136, v113, s20, -v136
	v_add_f16_e32 v131, v144, v131
	v_fma_f16 v144, v141, s18, v143
	v_fma_f16 v143, v140, s5, v142
	;; [unrolled: 1-line block ×3, first 2 shown]
	v_add_f16_e32 v136, v49, v136
	v_fma_f16 v138, v112, s22, v138
	v_add_f16_e32 v137, v143, v137
	v_mul_f16_sdwa v143, v140, s5 dst_sel:DWORD dst_unused:UNUSED_PAD src0_sel:WORD_1 src1_sel:DWORD
	v_fma_f16 v142, v140, s5, -v142
	v_add_f16_sdwa v138, v49, v138 dst_sel:DWORD dst_unused:UNUSED_PAD src0_sel:WORD_1 src1_sel:DWORD
	v_add_f16_e32 v136, v142, v136
	v_fma_f16 v142, v141, s19, v143
	v_add_f16_e32 v138, v142, v138
	v_pk_add_f16 v142, v63, v62
	v_pk_add_f16 v62, v62, v63 neg_lo:[0,1] neg_hi:[0,1]
	v_add_f16_sdwa v135, v49, v135 dst_sel:DWORD dst_unused:UNUSED_PAD src0_sel:WORD_1 src1_sel:DWORD
	v_pk_mul_f16 v63, v62, s14 op_sel_hi:[1,0]
	v_add_f16_sdwa v139, v49, v139 dst_sel:DWORD dst_unused:UNUSED_PAD src0_sel:WORD_1 src1_sel:DWORD
	v_add_f16_e32 v135, v144, v135
	v_fma_f16 v144, v141, s14, v143
	v_pk_fma_f16 v143, v142, s5, v63 op_sel:[0,0,1] op_sel_hi:[1,0,0]
	v_pk_fma_f16 v63, v142, s5, v63 op_sel:[0,0,1] op_sel_hi:[1,0,0] neg_lo:[0,0,1] neg_hi:[0,0,1]
	v_add_f16_e32 v139, v144, v139
	v_bfi_b32 v144, s0, v143, v63
	v_pk_add_f16 v115, v144, v115
	v_mul_f16_sdwa v144, v62, s21 dst_sel:DWORD dst_unused:UNUSED_PAD src0_sel:WORD_1 src1_sel:DWORD
	v_fma_f16 v145, v142, s17, v144
	v_add_f16_e32 v117, v145, v117
	v_mul_f16_sdwa v145, v142, s17 dst_sel:DWORD dst_unused:UNUSED_PAD src0_sel:WORD_1 src1_sel:DWORD
	v_fma_f16 v144, v142, s17, -v144
	v_add_f16_e32 v116, v144, v116
	v_fma_f16 v144, v62, s21, v145
	v_add_f16_e32 v118, v144, v118
	v_mul_f16_sdwa v144, v62, s30 dst_sel:DWORD dst_unused:UNUSED_PAD src0_sel:WORD_1 src1_sel:DWORD
	v_fma_f16 v146, v62, s28, v145
	v_fma_f16 v145, v142, s25, v144
	v_add_f16_e32 v121, v145, v121
	v_mul_f16_sdwa v145, v142, s25 dst_sel:DWORD dst_unused:UNUSED_PAD src0_sel:WORD_1 src1_sel:DWORD
	v_fma_f16 v144, v142, s25, -v144
	v_add_f16_e32 v120, v144, v120
	v_fma_f16 v144, v62, s30, v145
	v_add_f16_e32 v122, v144, v122
	v_mul_f16_sdwa v144, v62, s24 dst_sel:DWORD dst_unused:UNUSED_PAD src0_sel:WORD_1 src1_sel:DWORD
	v_add_f16_e32 v119, v146, v119
	v_fma_f16 v146, v62, s26, v145
	v_fma_f16 v145, v142, s15, v144
	v_add_f16_e32 v125, v145, v125
	v_mul_f16_sdwa v145, v142, s15 dst_sel:DWORD dst_unused:UNUSED_PAD src0_sel:WORD_1 src1_sel:DWORD
	v_fma_f16 v144, v142, s15, -v144
	v_add_f16_e32 v124, v144, v124
	v_fma_f16 v144, v62, s24, v145
	v_add_f16_e32 v126, v144, v126
	v_mul_f16_sdwa v144, v62, s23 dst_sel:DWORD dst_unused:UNUSED_PAD src0_sel:WORD_1 src1_sel:DWORD
	v_add_f16_e32 v123, v146, v123
	v_fma_f16 v146, v62, s18, v145
	v_fma_f16 v145, v142, s3, v144
	v_add_f16_e32 v129, v145, v129
	v_mul_f16_sdwa v145, v142, s3 dst_sel:DWORD dst_unused:UNUSED_PAD src0_sel:WORD_1 src1_sel:DWORD
	v_fma_f16 v144, v142, s3, -v144
	v_add_f16_e32 v128, v144, v128
	v_fma_f16 v144, v62, s23, v145
	v_add_f16_e32 v130, v144, v130
	v_mul_f16_sdwa v144, v62, s4 dst_sel:DWORD dst_unused:UNUSED_PAD src0_sel:WORD_1 src1_sel:DWORD
	v_add_f16_e32 v127, v146, v127
	v_fma_f16 v146, v62, s12, v145
	v_fma_f16 v145, v142, s2, v144
	v_add_f16_e32 v133, v145, v133
	v_mul_f16_sdwa v145, v142, s2 dst_sel:DWORD dst_unused:UNUSED_PAD src0_sel:WORD_1 src1_sel:DWORD
	v_fma_f16 v144, v142, s2, -v144
	v_add_f16_e32 v132, v144, v132
	v_fma_f16 v144, v62, s4, v145
	s_movk_i32 s31, 0x35c8
	v_add_f16_e32 v134, v144, v134
	v_mul_f16_sdwa v144, v62, s16 dst_sel:DWORD dst_unused:UNUSED_PAD src0_sel:WORD_1 src1_sel:DWORD
	v_add_f16_e32 v131, v146, v131
	v_fma_f16 v146, v62, s31, v145
	v_fma_f16 v145, v142, s13, v144
	v_add_f16_e32 v137, v145, v137
	v_mul_f16_sdwa v145, v142, s13 dst_sel:DWORD dst_unused:UNUSED_PAD src0_sel:WORD_1 src1_sel:DWORD
	v_fma_f16 v144, v142, s13, -v144
	v_add_f16_e32 v136, v144, v136
	v_fma_f16 v144, v62, s16, v145
	v_add_f16_e32 v138, v144, v138
	v_pk_add_f16 v144, v60, v57
	v_pk_add_f16 v57, v57, v60 neg_lo:[0,1] neg_hi:[0,1]
	v_pk_mul_f16 v60, v57, s16 op_sel_hi:[1,0]
	v_add_f16_e32 v135, v146, v135
	v_fma_f16 v146, v62, s29, v145
	v_pk_fma_f16 v145, v144, s13, v60 op_sel:[0,0,1] op_sel_hi:[1,0,0]
	v_pk_fma_f16 v60, v144, s13, v60 op_sel:[0,0,1] op_sel_hi:[1,0,0] neg_lo:[0,0,1] neg_hi:[0,0,1]
	v_add_f16_e32 v139, v146, v139
	v_bfi_b32 v146, s0, v145, v60
	v_pk_add_f16 v115, v146, v115
	v_mul_f16_sdwa v146, v57, s26 dst_sel:DWORD dst_unused:UNUSED_PAD src0_sel:WORD_1 src1_sel:DWORD
	v_fma_f16 v147, v144, s25, v146
	v_add_f16_e32 v117, v147, v117
	v_mul_f16_sdwa v147, v144, s25 dst_sel:DWORD dst_unused:UNUSED_PAD src0_sel:WORD_1 src1_sel:DWORD
	v_fma_f16 v146, v144, s25, -v146
	v_add_f16_e32 v116, v146, v116
	v_fma_f16 v146, v57, s26, v147
	v_add_f16_e32 v118, v146, v118
	v_mul_f16_sdwa v146, v57, s24 dst_sel:DWORD dst_unused:UNUSED_PAD src0_sel:WORD_1 src1_sel:DWORD
	v_fma_f16 v148, v57, s30, v147
	v_fma_f16 v147, v144, s15, v146
	v_add_f16_e32 v121, v147, v121
	v_mul_f16_sdwa v147, v144, s15 dst_sel:DWORD dst_unused:UNUSED_PAD src0_sel:WORD_1 src1_sel:DWORD
	v_fma_f16 v146, v144, s15, -v146
	v_add_f16_e32 v120, v146, v120
	v_fma_f16 v146, v57, s24, v147
	v_add_f16_e32 v122, v146, v122
	v_mul_f16_sdwa v146, v57, s31 dst_sel:DWORD dst_unused:UNUSED_PAD src0_sel:WORD_1 src1_sel:DWORD
	v_add_f16_e32 v119, v148, v119
	v_fma_f16 v148, v57, s18, v147
	v_fma_f16 v147, v144, s2, v146
	v_add_f16_e32 v125, v147, v125
	v_mul_f16_sdwa v147, v144, s2 dst_sel:DWORD dst_unused:UNUSED_PAD src0_sel:WORD_1 src1_sel:DWORD
	v_fma_f16 v146, v144, s2, -v146
	v_add_f16_e32 v124, v146, v124
	v_fma_f16 v146, v57, s31, v147
	v_add_f16_e32 v126, v146, v126
	v_mul_f16_sdwa v146, v57, s14 dst_sel:DWORD dst_unused:UNUSED_PAD src0_sel:WORD_1 src1_sel:DWORD
	v_add_f16_e32 v123, v148, v123
	;; [unrolled: 10-line block ×4, first 2 shown]
	v_fma_f16 v148, v57, s27, v147
	v_fma_f16 v147, v144, s17, v146
	v_add_f16_e32 v137, v147, v137
	v_mul_f16_sdwa v147, v144, s17 dst_sel:DWORD dst_unused:UNUSED_PAD src0_sel:WORD_1 src1_sel:DWORD
	v_fma_f16 v146, v144, s17, -v146
	v_add_f16_e32 v136, v146, v136
	v_fma_f16 v146, v57, s28, v147
	v_add_f16_e32 v138, v146, v138
	v_pk_add_f16 v146, v59, v58
	v_pk_add_f16 v58, v58, v59 neg_lo:[0,1] neg_hi:[0,1]
	v_pk_mul_f16 v59, v58, s18 op_sel_hi:[1,0]
	v_add_f16_e32 v135, v148, v135
	v_fma_f16 v148, v57, s21, v147
	v_pk_fma_f16 v147, v146, s15, v59 op_sel:[0,0,1] op_sel_hi:[1,0,0]
	v_pk_fma_f16 v59, v146, s15, v59 op_sel:[0,0,1] op_sel_hi:[1,0,0] neg_lo:[0,0,1] neg_hi:[0,0,1]
	v_add_f16_e32 v139, v148, v139
	v_bfi_b32 v148, s0, v147, v59
	v_pk_add_f16 v115, v148, v115
	v_mul_f16_sdwa v148, v58, s27 dst_sel:DWORD dst_unused:UNUSED_PAD src0_sel:WORD_1 src1_sel:DWORD
	v_fma_f16 v149, v146, s20, v148
	v_add_f16_e32 v117, v149, v117
	v_mul_f16_sdwa v149, v146, s20 dst_sel:DWORD dst_unused:UNUSED_PAD src0_sel:WORD_1 src1_sel:DWORD
	v_fma_f16 v148, v146, s20, -v148
	v_add_f16_e32 v116, v148, v116
	v_fma_f16 v148, v58, s27, v149
	v_add_f16_e32 v118, v148, v118
	v_mul_f16_sdwa v148, v58, s23 dst_sel:DWORD dst_unused:UNUSED_PAD src0_sel:WORD_1 src1_sel:DWORD
	v_fma_f16 v150, v58, s22, v149
	v_fma_f16 v149, v146, s3, v148
	v_add_f16_e32 v121, v149, v121
	v_mul_f16_sdwa v149, v146, s3 dst_sel:DWORD dst_unused:UNUSED_PAD src0_sel:WORD_1 src1_sel:DWORD
	v_fma_f16 v148, v146, s3, -v148
	v_add_f16_e32 v120, v148, v120
	v_fma_f16 v148, v58, s23, v149
	v_add_f16_e32 v122, v148, v122
	v_mul_f16_sdwa v148, v58, s14 dst_sel:DWORD dst_unused:UNUSED_PAD src0_sel:WORD_1 src1_sel:DWORD
	v_add_f16_e32 v119, v150, v119
	v_fma_f16 v150, v58, s12, v149
	v_fma_f16 v149, v146, s5, v148
	v_add_f16_e32 v125, v149, v125
	v_mul_f16_sdwa v149, v146, s5 dst_sel:DWORD dst_unused:UNUSED_PAD src0_sel:WORD_1 src1_sel:DWORD
	v_fma_f16 v148, v146, s5, -v148
	v_add_f16_e32 v124, v148, v124
	v_fma_f16 v148, v58, s14, v149
	v_add_f16_e32 v126, v148, v126
	v_mul_f16_sdwa v148, v58, s26 dst_sel:DWORD dst_unused:UNUSED_PAD src0_sel:WORD_1 src1_sel:DWORD
	v_add_f16_e32 v123, v150, v123
	;; [unrolled: 10-line block ×4, first 2 shown]
	v_fma_f16 v150, v58, s16, v149
	v_fma_f16 v149, v146, s2, v148
	v_add_f16_e32 v137, v149, v137
	v_mul_f16_sdwa v149, v146, s2 dst_sel:DWORD dst_unused:UNUSED_PAD src0_sel:WORD_1 src1_sel:DWORD
	v_fma_f16 v148, v146, s2, -v148
	v_add_f16_e32 v136, v148, v136
	v_fma_f16 v148, v58, s4, v149
	v_add_f16_e32 v138, v148, v138
	v_pk_add_f16 v148, v56, v53
	v_pk_add_f16 v53, v53, v56 neg_lo:[0,1] neg_hi:[0,1]
	v_pk_mul_f16 v56, v53, s21 op_sel_hi:[1,0]
	v_add_f16_e32 v135, v150, v135
	v_fma_f16 v150, v58, s31, v149
	v_pk_fma_f16 v149, v148, s17, v56 op_sel:[0,0,1] op_sel_hi:[1,0,0]
	v_pk_fma_f16 v56, v148, s17, v56 op_sel:[0,0,1] op_sel_hi:[1,0,0] neg_lo:[0,0,1] neg_hi:[0,0,1]
	v_add_f16_e32 v139, v150, v139
	v_bfi_b32 v150, s0, v149, v56
	v_pk_add_f16 v115, v150, v115
	v_mul_f16_sdwa v150, v53, s24 dst_sel:DWORD dst_unused:UNUSED_PAD src0_sel:WORD_1 src1_sel:DWORD
	v_fma_f16 v151, v148, s15, v150
	v_add_f16_e32 v117, v151, v117
	v_mul_f16_sdwa v151, v148, s15 dst_sel:DWORD dst_unused:UNUSED_PAD src0_sel:WORD_1 src1_sel:DWORD
	v_fma_f16 v150, v148, s15, -v150
	v_add_f16_e32 v116, v150, v116
	v_fma_f16 v150, v53, s24, v151
	v_add_f16_e32 v118, v150, v118
	v_mul_f16_sdwa v150, v53, s4 dst_sel:DWORD dst_unused:UNUSED_PAD src0_sel:WORD_1 src1_sel:DWORD
	v_fma_f16 v152, v53, s18, v151
	v_fma_f16 v151, v148, s2, v150
	v_add_f16_e32 v121, v151, v121
	v_mul_f16_sdwa v151, v148, s2 dst_sel:DWORD dst_unused:UNUSED_PAD src0_sel:WORD_1 src1_sel:DWORD
	v_fma_f16 v150, v148, s2, -v150
	v_add_f16_e32 v120, v150, v120
	v_fma_f16 v150, v53, s4, v151
	v_add_f16_e32 v122, v150, v122
	v_mul_f16_sdwa v150, v53, s22 dst_sel:DWORD dst_unused:UNUSED_PAD src0_sel:WORD_1 src1_sel:DWORD
	v_add_f16_e32 v119, v152, v119
	v_fma_f16 v152, v53, s31, v151
	v_fma_f16 v151, v148, s20, v150
	v_add_f16_e32 v125, v151, v125
	v_mul_f16_sdwa v151, v148, s20 dst_sel:DWORD dst_unused:UNUSED_PAD src0_sel:WORD_1 src1_sel:DWORD
	v_fma_f16 v150, v148, s20, -v150
	v_add_f16_e32 v124, v150, v124
	v_fma_f16 v150, v53, s22, v151
	v_add_f16_e32 v126, v150, v126
	v_mul_f16_sdwa v150, v53, s29 dst_sel:DWORD dst_unused:UNUSED_PAD src0_sel:WORD_1 src1_sel:DWORD
	v_add_f16_e32 v123, v152, v123
	;; [unrolled: 10-line block ×4, first 2 shown]
	v_fma_f16 v152, v53, s23, v151
	v_fma_f16 v151, v148, s25, v150
	v_add_f16_e32 v137, v151, v137
	v_mul_f16_sdwa v151, v148, s25 dst_sel:DWORD dst_unused:UNUSED_PAD src0_sel:WORD_1 src1_sel:DWORD
	v_fma_f16 v150, v148, s25, -v150
	v_add_f16_e32 v136, v150, v136
	v_fma_f16 v150, v53, s26, v151
	v_add_f16_e32 v138, v150, v138
	v_pk_add_f16 v150, v55, v54
	v_pk_add_f16 v54, v54, v55 neg_lo:[0,1] neg_hi:[0,1]
	v_pk_mul_f16 v55, v54, s22 op_sel_hi:[1,0]
	v_add_f16_e32 v135, v152, v135
	v_fma_f16 v152, v53, s30, v151
	v_pk_fma_f16 v151, v150, s20, v55 op_sel:[0,0,1] op_sel_hi:[1,0,0]
	v_pk_fma_f16 v55, v150, s20, v55 op_sel:[0,0,1] op_sel_hi:[1,0,0] neg_lo:[0,0,1] neg_hi:[0,0,1]
	v_add_f16_e32 v139, v152, v139
	v_bfi_b32 v152, s0, v151, v55
	v_pk_add_f16 v115, v152, v115
	v_mul_f16_sdwa v152, v54, s19 dst_sel:DWORD dst_unused:UNUSED_PAD src0_sel:WORD_1 src1_sel:DWORD
	v_fma_f16 v153, v150, s5, v152
	v_add_f16_e32 v117, v153, v117
	v_mul_f16_sdwa v153, v150, s5 dst_sel:DWORD dst_unused:UNUSED_PAD src0_sel:WORD_1 src1_sel:DWORD
	v_fma_f16 v152, v150, s5, -v152
	v_add_f16_e32 v116, v152, v116
	v_fma_f16 v152, v54, s19, v153
	v_add_f16_e32 v118, v152, v118
	v_mul_f16_sdwa v152, v54, s16 dst_sel:DWORD dst_unused:UNUSED_PAD src0_sel:WORD_1 src1_sel:DWORD
	v_fma_f16 v154, v54, s14, v153
	v_fma_f16 v153, v150, s13, v152
	v_add_f16_e32 v121, v153, v121
	v_mul_f16_sdwa v153, v150, s13 dst_sel:DWORD dst_unused:UNUSED_PAD src0_sel:WORD_1 src1_sel:DWORD
	v_fma_f16 v152, v150, s13, -v152
	v_add_f16_e32 v120, v152, v120
	v_fma_f16 v152, v54, s16, v153
	v_add_f16_e32 v122, v152, v122
	v_mul_f16_sdwa v152, v54, s28 dst_sel:DWORD dst_unused:UNUSED_PAD src0_sel:WORD_1 src1_sel:DWORD
	v_add_f16_e32 v119, v154, v119
	v_fma_f16 v154, v54, s29, v153
	v_fma_f16 v153, v150, s17, v152
	v_add_f16_e32 v125, v153, v125
	v_mul_f16_sdwa v153, v150, s17 dst_sel:DWORD dst_unused:UNUSED_PAD src0_sel:WORD_1 src1_sel:DWORD
	v_fma_f16 v152, v150, s17, -v152
	v_add_f16_e32 v124, v152, v124
	v_fma_f16 v152, v54, s28, v153
	v_add_f16_e32 v126, v152, v126
	v_mul_f16_sdwa v152, v54, s4 dst_sel:DWORD dst_unused:UNUSED_PAD src0_sel:WORD_1 src1_sel:DWORD
	v_add_f16_e32 v123, v154, v123
	;; [unrolled: 10-line block ×4, first 2 shown]
	v_fma_f16 v154, v54, s30, v153
	v_fma_f16 v153, v150, s3, v152
	v_add_f16_e32 v137, v153, v137
	v_mul_f16_sdwa v153, v150, s3 dst_sel:DWORD dst_unused:UNUSED_PAD src0_sel:WORD_1 src1_sel:DWORD
	v_fma_f16 v152, v150, s3, -v152
	v_add_f16_e32 v136, v152, v136
	v_fma_f16 v152, v54, s23, v153
	v_add_f16_e32 v138, v152, v138
	v_pk_add_f16 v152, v52, v51
	v_pk_add_f16 v51, v51, v52 neg_lo:[0,1] neg_hi:[0,1]
	v_pk_mul_f16 v52, v51, s26 op_sel_hi:[1,0]
	v_add_f16_e32 v135, v154, v135
	v_fma_f16 v154, v54, s12, v153
	v_pk_fma_f16 v153, v152, s25, v52 op_sel:[0,0,1] op_sel_hi:[1,0,0]
	v_pk_fma_f16 v52, v152, s25, v52 op_sel:[0,0,1] op_sel_hi:[1,0,0] neg_lo:[0,0,1] neg_hi:[0,0,1]
	v_add_f16_e32 v139, v154, v139
	v_bfi_b32 v154, s0, v153, v52
	v_pk_add_f16 v115, v154, v115
	v_mul_f16_sdwa v154, v51, s31 dst_sel:DWORD dst_unused:UNUSED_PAD src0_sel:WORD_1 src1_sel:DWORD
	v_fma_f16 v155, v152, s2, v154
	v_add_f16_e32 v117, v155, v117
	v_mul_f16_sdwa v155, v152, s2 dst_sel:DWORD dst_unused:UNUSED_PAD src0_sel:WORD_1 src1_sel:DWORD
	v_fma_f16 v154, v152, s2, -v154
	v_add_f16_e32 v116, v154, v116
	v_fma_f16 v154, v51, s31, v155
	v_add_f16_e32 v118, v154, v118
	v_mul_f16_sdwa v154, v51, s22 dst_sel:DWORD dst_unused:UNUSED_PAD src0_sel:WORD_1 src1_sel:DWORD
	v_fma_f16 v156, v51, s4, v155
	v_fma_f16 v155, v152, s20, v154
	v_add_f16_e32 v121, v155, v121
	v_mul_f16_sdwa v155, v152, s20 dst_sel:DWORD dst_unused:UNUSED_PAD src0_sel:WORD_1 src1_sel:DWORD
	v_fma_f16 v154, v152, s20, -v154
	v_add_f16_e32 v120, v154, v120
	v_fma_f16 v154, v51, s22, v155
	v_add_f16_e32 v122, v154, v122
	v_mul_f16_sdwa v154, v51, s23 dst_sel:DWORD dst_unused:UNUSED_PAD src0_sel:WORD_1 src1_sel:DWORD
	v_add_f16_e32 v119, v156, v119
	v_fma_f16 v156, v51, s27, v155
	v_fma_f16 v155, v152, s3, v154
	v_add_f16_e32 v125, v155, v125
	v_mul_f16_sdwa v155, v152, s3 dst_sel:DWORD dst_unused:UNUSED_PAD src0_sel:WORD_1 src1_sel:DWORD
	v_fma_f16 v154, v152, s3, -v154
	v_add_f16_e32 v124, v154, v124
	v_fma_f16 v154, v51, s23, v155
	v_add_f16_e32 v126, v154, v126
	v_mul_f16_sdwa v154, v51, s21 dst_sel:DWORD dst_unused:UNUSED_PAD src0_sel:WORD_1 src1_sel:DWORD
	v_add_f16_e32 v123, v156, v123
	;; [unrolled: 10-line block ×4, first 2 shown]
	v_fma_f16 v156, v51, s14, v155
	v_fma_f16 v155, v152, s15, v154
	v_add_f16_e32 v137, v155, v137
	v_mul_f16_sdwa v155, v152, s15 dst_sel:DWORD dst_unused:UNUSED_PAD src0_sel:WORD_1 src1_sel:DWORD
	s_barrier
	v_add_f16_e32 v135, v156, v135
	v_fma_f16 v156, v51, s24, v155
	ds_write2_b32 v85, v114, v115 offset1:1
	v_pack_b32_f16 v114, v121, v123
	v_pack_b32_f16 v115, v117, v119
	v_add_f16_e32 v139, v156, v139
	ds_write2_b32 v85, v115, v114 offset0:2 offset1:3
	v_pack_b32_f16 v114, v129, v131
	v_pack_b32_f16 v115, v125, v127
	ds_write2_b32 v85, v115, v114 offset0:4 offset1:5
	v_pack_b32_f16 v114, v137, v139
	v_pack_b32_f16 v115, v133, v135
	v_pk_mul_f16 v113, v113, s25 op_sel_hi:[1,0]
	ds_write2_b32 v85, v115, v114 offset0:6 offset1:7
	v_pk_fma_f16 v114, v112, s26, v113 op_sel:[0,0,1] op_sel_hi:[1,0,0]
	v_pk_fma_f16 v112, v112, s26, v113 op_sel:[0,0,1] op_sel_hi:[1,0,0] neg_lo:[1,0,0] neg_hi:[1,0,0]
	v_alignbit_b32 v113, s0, v49, 16
	v_alignbit_b32 v115, s0, v114, 16
	v_pk_add_f16 v113, v113, v114
	v_pk_mul_f16 v114, v140, s2 op_sel_hi:[1,0]
	v_pk_add_f16 v112, v49, v112 op_sel:[1,0] op_sel_hi:[0,1]
	v_pk_fma_f16 v117, v141, s31, v114 op_sel:[0,0,1] op_sel_hi:[1,0,0]
	v_pk_fma_f16 v114, v141, s31, v114 op_sel:[0,0,1] op_sel_hi:[1,0,0] neg_lo:[1,0,0] neg_hi:[1,0,0]
	v_pk_add_f16 v112, v114, v112
	v_pk_mul_f16 v114, v142, s20 op_sel_hi:[1,0]
	v_alignbit_b32 v119, s0, v117, 16
	v_pk_add_f16 v113, v117, v113
	v_pk_fma_f16 v117, v62, s22, v114 op_sel:[0,0,1] op_sel_hi:[1,0,0]
	v_pk_fma_f16 v62, v62, s22, v114 op_sel:[0,0,1] op_sel_hi:[1,0,0] neg_lo:[1,0,0] neg_hi:[1,0,0]
	v_pk_add_f16 v62, v62, v112
	v_pk_add_f16 v112, v117, v113
	v_pk_mul_f16 v113, v144, s3 op_sel_hi:[1,0]
	v_pk_fma_f16 v114, v57, s23, v113 op_sel:[0,0,1] op_sel_hi:[1,0,0]
	v_pk_fma_f16 v57, v57, s23, v113 op_sel:[0,0,1] op_sel_hi:[1,0,0] neg_lo:[1,0,0] neg_hi:[1,0,0]
	v_pk_add_f16 v57, v57, v62
	v_pk_add_f16 v62, v114, v112
	v_pk_mul_f16 v112, v146, s17 op_sel_hi:[1,0]
	v_pk_fma_f16 v113, v58, s21, v112 op_sel:[0,0,1] op_sel_hi:[1,0,0]
	v_pk_fma_f16 v58, v58, s21, v112 op_sel:[0,0,1] op_sel_hi:[1,0,0] neg_lo:[1,0,0] neg_hi:[1,0,0]
	v_pk_add_f16 v115, v49, v115
	v_pk_add_f16 v57, v58, v57
	;; [unrolled: 1-line block ×3, first 2 shown]
	v_pk_mul_f16 v62, v148, s5 op_sel_hi:[1,0]
	v_pk_add_f16 v115, v119, v115
	v_alignbit_b32 v119, s0, v117, 16
	v_pk_fma_f16 v112, v53, s19, v62 op_sel:[0,0,1] op_sel_hi:[1,0,0]
	v_pk_fma_f16 v53, v53, s19, v62 op_sel:[0,0,1] op_sel_hi:[1,0,0] neg_lo:[1,0,0] neg_hi:[1,0,0]
	v_pk_add_f16 v115, v119, v115
	v_alignbit_b32 v117, s0, v114, 16
	v_pk_add_f16 v53, v53, v57
	v_pk_add_f16 v57, v112, v58
	v_pk_mul_f16 v58, v150, s15 op_sel_hi:[1,0]
	v_pk_add_f16 v115, v117, v115
	v_alignbit_b32 v114, s0, v113, 16
	v_pk_fma_f16 v62, v54, s18, v58 op_sel:[0,0,1] op_sel_hi:[1,0,0]
	v_pk_fma_f16 v54, v54, s18, v58 op_sel:[0,0,1] op_sel_hi:[1,0,0] neg_lo:[1,0,0] neg_hi:[1,0,0]
	v_bfi_b32 v50, s0, v111, v50
	v_pk_add_f16 v114, v114, v115
	v_alignbit_b32 v113, s0, v112, 16
	v_pk_add_f16 v53, v54, v53
	v_pk_add_f16 v54, v62, v57
	v_pk_mul_f16 v57, v152, s13 op_sel_hi:[1,0]
	v_pk_add_f16 v49, v49, v50
	v_bfi_b32 v50, s0, v64, v61
	v_fma_f16 v154, v152, s15, -v154
	v_pk_add_f16 v113, v113, v114
	v_alignbit_b32 v112, s0, v62, 16
	v_pk_fma_f16 v58, v51, s29, v57 op_sel:[0,0,1] op_sel_hi:[1,0,0]
	v_pk_add_f16 v49, v50, v49
	v_bfi_b32 v50, s0, v63, v143
	v_add_f16_e32 v136, v154, v136
	v_fma_f16 v154, v51, s18, v155
	v_pk_add_f16 v112, v112, v113
	v_alignbit_b32 v62, s0, v58, 16
	v_pk_fma_f16 v51, v51, s29, v57 op_sel:[0,0,1] op_sel_hi:[1,0,0] neg_lo:[1,0,0] neg_hi:[1,0,0]
	v_pk_add_f16 v49, v50, v49
	v_bfi_b32 v50, s0, v60, v145
	v_pk_add_f16 v62, v62, v112
	v_pk_add_f16 v51, v51, v53
	;; [unrolled: 1-line block ×4, first 2 shown]
	v_bfi_b32 v50, s0, v59, v147
	v_add_f16_e32 v138, v154, v138
	v_alignbit_b32 v53, v53, v51, 16
	v_pack_b32_f16 v51, v62, v51
	v_pk_add_f16 v49, v50, v49
	v_bfi_b32 v50, s0, v56, v149
	ds_write2_b32 v85, v51, v53 offset0:8 offset1:9
	v_pack_b32_f16 v51, v132, v134
	v_pack_b32_f16 v53, v136, v138
	v_pk_add_f16 v49, v50, v49
	v_bfi_b32 v50, s0, v55, v151
	ds_write2_b32 v85, v53, v51 offset0:10 offset1:11
	v_pack_b32_f16 v51, v124, v126
	;; [unrolled: 5-line block ×3, first 2 shown]
	v_pack_b32_f16 v53, v120, v122
	v_pk_add_f16 v49, v50, v49
	ds_write2_b32 v85, v53, v51 offset0:14 offset1:15
	ds_write_b32 v85, v49 offset:64
	s_and_saveexec_b64 s[0:1], vcc
	s_cbranch_execz .LBB0_13
; %bb.12:
	v_add_f16_sdwa v116, v97, v108 dst_sel:DWORD dst_unused:UNUSED_PAD src0_sel:WORD_1 src1_sel:DWORD
	v_mul_f16_e32 v117, 0xbbdd, v116
	v_sub_f16_e32 v50, v47, v16
	v_add_f16_e32 v118, v91, v109
	v_fma_f16 v49, v50, s30, v117
	v_mul_f16_e32 v119, 0x3b76, v118
	v_sub_f16_e32 v51, v48, v15
	v_add_f16_e32 v49, v106, v49
	v_fma_f16 v52, v51, s4, v119
	v_add_f16_e32 v120, v92, v110
	v_add_f16_e32 v49, v52, v49
	v_mul_f16_e32 v121, 0xbacd, v120
	v_sub_f16_e32 v52, v41, v18
	v_fma_f16 v53, v52, s27, v121
	v_add_f16_e32 v122, v93, v87
	v_add_f16_e32 v49, v53, v49
	v_mul_f16_e32 v123, 0x39e9, v122
	v_sub_f16_e32 v53, v42, v17
	;; [unrolled: 5-line block ×6, first 2 shown]
	v_fma_f16 v58, v57, s16, v131
	v_sub_f16_sdwa v132, v108, v97 dst_sel:DWORD dst_unused:UNUSED_PAD src0_sel:DWORD src1_sel:WORD_1
	v_add_f16_e32 v49, v58, v49
	v_add_f16_e32 v58, v16, v47
	v_mul_f16_e32 v133, 0xb1e1, v132
	v_fma_f16 v59, v58, s25, v133
	v_sub_f16_e32 v134, v109, v91
	v_add_f16_e32 v60, v105, v59
	v_add_f16_e32 v59, v15, v48
	v_mul_f16_e32 v135, 0x35c8, v134
	v_fma_f16 v61, v59, s2, v135
	v_sub_f16_e32 v136, v110, v92
	;; [unrolled: 5-line block ×7, first 2 shown]
	v_add_f16_e32 v62, v111, v62
	v_add_f16_e32 v111, v45, v97
	v_mul_f16_e32 v147, 0x3bf7, v146
	v_fma_f16 v112, v111, s13, v147
	v_mul_f16_e32 v148, 0xbacd, v116
	v_add_f16_e32 v62, v112, v62
	v_fma_f16 v112, v50, s27, v148
	v_mul_f16_e32 v149, 0x3722, v118
	v_add_f16_e32 v112, v106, v112
	;; [unrolled: 3-line block ×26, first 2 shown]
	v_fma_f16 v174, v59, s15, v173
	v_add_f16_e32 v115, v174, v115
	v_mul_f16_e32 v174, 0xb5c8, v136
	v_fma_f16 v175, v60, s2, v174
	v_add_f16_e32 v115, v175, v115
	v_mul_f16_e32 v175, 0xb836, v138
	;; [unrolled: 3-line block ×7, first 2 shown]
	v_fma_f16 v181, v50, s24, v180
	v_mul_f16_e32 v182, 0xbacd, v118
	v_add_f16_e32 v181, v106, v181
	v_fma_f16 v183, v51, s22, v182
	v_add_f16_e32 v181, v183, v181
	v_mul_f16_e32 v183, 0x39e9, v120
	v_fma_f16 v184, v52, s12, v183
	v_add_f16_e32 v181, v184, v181
	v_mul_f16_e32 v184, 0x3722, v122
	;; [unrolled: 3-line block ×5, first 2 shown]
	v_add_f16_e32 v47, v47, v105
	v_fma_f16 v188, v56, s31, v187
	v_add_f16_e32 v47, v48, v47
	v_add_f16_e32 v181, v188, v181
	v_mul_f16_e32 v188, 0xb8d2, v130
	v_add_f16_e32 v41, v41, v47
	v_fma_f16 v189, v57, s28, v188
	v_add_f16_e32 v41, v42, v41
	v_add_f16_e32 v181, v189, v181
	v_mul_f16_e32 v189, 0xbbb2, v132
	v_add_f16_e32 v19, v19, v41
	v_fma_f16 v190, v58, s15, v189
	v_mul_f16_e32 v191, 0x3836, v134
	v_add_f16_e32 v19, v20, v19
	v_add_f16_e32 v190, v105, v190
	v_fma_f16 v192, v59, s20, v191
	v_add_f16_e32 v19, v43, v19
	v_add_f16_e32 v190, v192, v190
	v_mul_f16_e32 v192, 0x3964, v136
	v_add_f16_e32 v19, v97, v19
	v_fma_f16 v193, v60, s3, v192
	v_add_f16_e32 v19, v45, v19
	v_add_f16_e32 v190, v193, v190
	v_mul_f16_e32 v193, 0xbb29, v138
	;; [unrolled: 5-line block ×4, first 2 shown]
	v_add_f16_e32 v17, v18, v17
	v_fma_f16 v196, v64, s13, v195
	v_add_f16_e32 v15, v15, v17
	v_fma_f16 v17, v50, s26, v117
	v_add_f16_e32 v190, v196, v190
	v_mul_f16_e32 v196, 0xb5c8, v144
	v_add_f16_e32 v17, v106, v17
	v_fma_f16 v18, v51, s31, v119
	v_fma_f16 v197, v85, s2, v196
	v_add_f16_e32 v17, v18, v17
	v_fma_f16 v18, v52, s22, v121
	v_add_f16_e32 v190, v197, v190
	v_mul_f16_e32 v197, 0xba62, v146
	v_add_f16_e32 v17, v18, v17
	v_fma_f16 v18, v53, s23, v123
	;; [unrolled: 7-line block ×3, first 2 shown]
	v_fma_f16 v199, v50, s29, v198
	v_mul_f16_e32 v200, 0xbbdd, v118
	v_add_f16_e32 v17, v18, v17
	v_fma_f16 v18, v56, s18, v129
	v_add_f16_e32 v199, v106, v199
	v_fma_f16 v201, v51, s30, v200
	;; [unrolled: 2-line block ×3, first 2 shown]
	v_add_f16_e32 v199, v201, v199
	v_mul_f16_e32 v201, 0xb461, v120
	v_add_f16_e32 v17, v18, v17
	v_fma_f16 v18, v58, s25, -v133
	v_fma_f16 v202, v52, s18, v201
	v_add_f16_e32 v18, v105, v18
	v_fma_f16 v19, v59, s2, -v135
	v_add_f16_e32 v199, v202, v199
	v_mul_f16_e32 v202, 0x3b76, v122
	v_add_f16_e32 v18, v19, v18
	v_fma_f16 v19, v60, s20, -v137
	v_fma_f16 v203, v53, s4, v202
	v_add_f16_e32 v18, v19, v18
	v_fma_f16 v19, v61, s3, -v139
	;; [unrolled: 7-line block ×4, first 2 shown]
	v_add_f16_e32 v199, v205, v199
	v_mul_f16_e32 v205, 0xb8d2, v128
	v_add_f16_e32 v18, v19, v18
	v_fma_f16 v19, v50, s22, v148
	v_fma_f16 v206, v56, s21, v205
	v_add_f16_e32 v19, v106, v19
	v_fma_f16 v20, v51, s19, v149
	v_add_f16_e32 v199, v206, v199
	v_mul_f16_e32 v206, 0x39e9, v130
	v_add_f16_e32 v19, v20, v19
	v_fma_f16 v20, v52, s16, v150
	v_fma_f16 v207, v57, s12, v206
	v_add_f16_e32 v19, v20, v19
	v_fma_f16 v20, v53, s28, v151
	v_add_f16_e32 v199, v207, v199
	v_mul_f16_e32 v207, 0xbbf7, v132
	v_add_f16_e32 v19, v20, v19
	v_fma_f16 v20, v54, s4, v152
	v_fma_f16 v208, v58, s13, v207
	v_mul_f16_e32 v209, 0xb1e1, v134
	v_add_f16_e32 v19, v20, v19
	v_fma_f16 v20, v55, s26, v153
	v_add_f16_e32 v208, v105, v208
	v_fma_f16 v210, v59, s25, v209
	;; [unrolled: 2-line block ×3, first 2 shown]
	v_add_f16_e32 v208, v210, v208
	v_mul_f16_e32 v210, 0x3bb2, v136
	v_add_f16_e32 v19, v20, v19
	v_fma_f16 v20, v57, s18, v155
	v_fma_f16 v211, v60, s15, v210
	v_add_f16_e32 v19, v20, v19
	v_fma_f16 v20, v58, s20, -v156
	v_add_f16_e32 v208, v211, v208
	v_mul_f16_e32 v211, 0x35c8, v138
	v_add_f16_e32 v20, v105, v20
	v_fma_f16 v21, v59, s5, -v157
	v_fma_f16 v212, v61, s2, v211
	v_add_f16_e32 v20, v21, v20
	v_fma_f16 v21, v60, s13, -v158
	v_add_f16_e32 v208, v212, v208
	v_mul_f16_e32 v212, 0xbb29, v140
	v_add_f16_e32 v20, v21, v20
	v_fma_f16 v21, v61, s17, -v159
	;; [unrolled: 7-line block ×4, first 2 shown]
	v_fma_f16 v215, v85, s17, v214
	v_add_f16_e32 v20, v21, v20
	v_fma_f16 v21, v50, s21, v164
	v_add_f16_e32 v208, v215, v208
	v_mul_f16_e32 v215, 0x3964, v146
	v_add_f16_e32 v21, v106, v21
	v_fma_f16 v22, v51, s24, v165
	v_fma_f16 v216, v111, s3, v215
	v_add_f16_e32 v21, v22, v21
	v_fma_f16 v22, v52, s4, v166
	v_add_f16_e32 v208, v216, v208
	v_mul_f16_e32 v216, 0x3722, v116
	v_add_f16_e32 v21, v22, v21
	v_fma_f16 v22, v53, s22, v167
	v_fma_f16 v217, v50, s19, v216
	v_mul_f16_e32 v218, 0xb8d2, v118
	v_add_f16_e32 v21, v22, v21
	v_fma_f16 v22, v54, s29, v168
	v_add_f16_e32 v217, v106, v217
	v_fma_f16 v219, v51, s28, v218
	;; [unrolled: 2-line block ×3, first 2 shown]
	v_add_f16_e32 v217, v219, v217
	v_mul_f16_e32 v219, 0xbbdd, v120
	v_add_f16_e32 v21, v22, v21
	v_fma_f16 v22, v56, s26, v170
	v_fma_f16 v220, v52, s26, v219
	v_add_f16_e32 v21, v22, v21
	v_fma_f16 v22, v57, s19, v171
	v_add_f16_e32 v217, v220, v217
	v_mul_f16_e32 v220, 0xb461, v122
	v_add_f16_e32 v21, v22, v21
	v_fma_f16 v22, v58, s17, -v172
	v_fma_f16 v221, v53, s18, v220
	v_add_f16_e32 v22, v105, v22
	v_fma_f16 v41, v59, s15, -v173
	v_add_f16_e32 v217, v221, v217
	v_mul_f16_e32 v221, 0x39e9, v124
	v_add_f16_e32 v22, v41, v22
	v_fma_f16 v41, v60, s2, -v174
	v_fma_f16 v222, v54, s12, v221
	v_add_f16_e32 v22, v41, v22
	v_fma_f16 v41, v61, s20, -v175
	;; [unrolled: 7-line block ×4, first 2 shown]
	v_add_f16_e32 v217, v224, v217
	v_mul_f16_e32 v224, 0xbacd, v130
	v_add_f16_e32 v22, v41, v22
	v_fma_f16 v41, v50, s18, v180
	v_fma_f16 v225, v57, s27, v224
	v_add_f16_e32 v41, v106, v41
	v_fma_f16 v42, v51, s27, v182
	v_add_f16_e32 v217, v225, v217
	v_mul_f16_e32 v225, 0xbb29, v132
	v_add_f16_e32 v41, v42, v41
	v_fma_f16 v42, v52, s23, v183
	v_fma_f16 v226, v58, s5, v225
	v_mul_f16_e32 v227, 0xba62, v134
	v_add_f16_e32 v41, v42, v41
	v_fma_f16 v42, v53, s14, v184
	v_add_f16_e32 v226, v105, v226
	v_fma_f16 v228, v59, s17, v227
	;; [unrolled: 2-line block ×3, first 2 shown]
	v_add_f16_e32 v226, v228, v226
	v_mul_f16_e32 v228, 0x31e1, v136
	v_add_f16_e32 v41, v42, v41
	v_fma_f16 v42, v55, s29, v186
	v_fma_f16 v229, v60, s25, v228
	v_add_f16_e32 v41, v42, v41
	v_fma_f16 v42, v56, s4, v187
	v_add_f16_e32 v226, v229, v226
	v_mul_f16_e32 v229, 0x3bb2, v138
	v_add_f16_e32 v41, v42, v41
	v_fma_f16 v42, v57, s21, v188
	v_fma_f16 v230, v61, s15, v229
	v_add_f16_e32 v41, v42, v41
	v_fma_f16 v42, v58, s15, -v189
	v_add_f16_e32 v226, v230, v226
	v_mul_f16_e32 v230, 0x3964, v140
	v_add_f16_e32 v42, v105, v42
	v_fma_f16 v43, v59, s20, -v191
	v_fma_f16 v231, v63, s3, v230
	v_add_f16_e32 v42, v43, v42
	v_fma_f16 v43, v60, s3, -v192
	v_add_f16_e32 v226, v231, v226
	v_mul_f16_e32 v231, 0xb5c8, v142
	v_add_f16_e32 v42, v43, v42
	v_fma_f16 v43, v61, s5, -v193
	;; [unrolled: 7-line block ×4, first 2 shown]
	v_fma_f16 v234, v111, s20, v233
	v_add_f16_e32 v42, v43, v42
	v_fma_f16 v43, v50, s16, v198
	v_add_f16_e32 v226, v234, v226
	v_mul_f16_e32 v234, 0x39e9, v116
	v_add_f16_e32 v43, v106, v43
	v_fma_f16 v45, v51, s26, v200
	v_fma_f16 v235, v50, s23, v234
	v_mul_f16_e32 v236, 0x2de8, v118
	v_add_f16_e32 v43, v45, v43
	v_fma_f16 v45, v52, s24, v201
	v_add_f16_e32 v235, v106, v235
	v_fma_f16 v237, v51, s29, v236
	;; [unrolled: 2-line block ×3, first 2 shown]
	v_add_f16_e32 v235, v237, v235
	v_mul_f16_e32 v237, 0xb8d2, v120
	v_add_f16_e32 v43, v45, v43
	v_fma_f16 v45, v54, s14, v203
	v_fma_f16 v238, v52, s28, v237
	v_add_f16_e32 v43, v45, v43
	v_fma_f16 v45, v55, s22, v204
	v_add_f16_e32 v235, v238, v235
	v_mul_f16_e32 v238, 0xbbdd, v122
	v_add_f16_e32 v43, v45, v43
	v_fma_f16 v45, v56, s28, v205
	v_fma_f16 v239, v53, s30, v238
	v_add_f16_e32 v43, v45, v43
	v_fma_f16 v45, v57, s23, v206
	v_add_f16_e32 v235, v239, v235
	v_mul_f16_e32 v239, 0xbacd, v124
	v_add_f16_e32 v43, v45, v43
	v_fma_f16 v45, v58, s13, -v207
	v_fma_f16 v240, v54, s22, v239
	v_add_f16_e32 v45, v105, v45
	v_fma_f16 v46, v59, s25, -v209
	v_add_f16_e32 v235, v240, v235
	v_mul_f16_e32 v240, 0xb461, v126
	v_add_f16_e32 v45, v46, v45
	v_fma_f16 v46, v60, s15, -v210
	v_fma_f16 v241, v55, s18, v240
	v_add_f16_e32 v45, v46, v45
	v_fma_f16 v46, v61, s2, -v211
	;; [unrolled: 7-line block ×4, first 2 shown]
	v_add_f16_e32 v235, v243, v235
	v_mul_f16_e32 v243, 0xb964, v132
	v_add_f16_e32 v45, v46, v45
	v_fma_f16 v46, v50, s14, v216
	v_fma_f16 v244, v58, s3, v243
	v_mul_f16_e32 v245, 0xbbf7, v134
	v_add_f16_e32 v46, v106, v46
	v_fma_f16 v47, v51, s21, v218
	v_add_f16_e32 v244, v105, v244
	v_fma_f16 v246, v59, s13, v245
	;; [unrolled: 2-line block ×3, first 2 shown]
	v_add_f16_e32 v244, v246, v244
	v_mul_f16_e32 v246, 0xba62, v136
	v_add_f16_e32 v46, v47, v46
	v_fma_f16 v47, v53, s24, v220
	v_fma_f16 v247, v60, s17, v246
	v_add_f16_e32 v46, v47, v46
	v_fma_f16 v47, v54, s23, v221
	v_add_f16_e32 v244, v247, v244
	v_mul_f16_e32 v247, 0xb1e1, v138
	v_add_f16_e32 v46, v47, v46
	v_fma_f16 v47, v55, s4, v222
	v_fma_f16 v248, v61, s25, v247
	v_add_f16_e32 v46, v47, v46
	v_fma_f16 v47, v56, s16, v223
	v_add_f16_e32 v244, v248, v244
	v_mul_f16_e32 v248, 0x3836, v140
	v_add_f16_e32 v46, v47, v46
	v_fma_f16 v47, v57, s22, v224
	v_fma_f16 v249, v63, s20, v248
	v_add_f16_e32 v46, v47, v46
	v_fma_f16 v47, v58, s5, -v225
	v_add_f16_e32 v244, v249, v244
	v_mul_f16_e32 v249, 0x3bb2, v142
	v_add_f16_e32 v47, v105, v47
	v_fma_f16 v48, v59, s17, -v227
	v_fma_f16 v250, v64, s15, v249
	v_add_f16_e32 v47, v48, v47
	v_fma_f16 v48, v60, s25, -v228
	v_add_f16_e32 v244, v250, v244
	v_mul_f16_e32 v250, 0x3b29, v144
	v_add_f16_e32 v47, v48, v47
	v_fma_f16 v48, v61, s15, -v229
	;; [unrolled: 7-line block ×3, first 2 shown]
	v_fma_f16 v252, v111, s2, v251
	v_mul_f16_e32 v116, 0x3b76, v116
	v_add_f16_e32 v15, v16, v15
	v_add_f16_e32 v16, v108, v106
	;; [unrolled: 1-line block ×3, first 2 shown]
	v_fma_f16 v48, v85, s13, -v232
	v_add_f16_e32 v244, v252, v244
	v_fma_f16 v252, v50, s31, v116
	v_mul_f16_e32 v118, 0x39e9, v118
	v_add_f16_e32 v16, v109, v16
	v_add_f16_e32 v47, v48, v47
	v_fma_f16 v48, v111, s20, -v233
	v_add_f16_e32 v252, v106, v252
	v_fma_f16 v253, v51, s23, v118
	v_mul_f16_e32 v120, 0x3722, v120
	v_add_f16_e32 v16, v110, v16
	v_add_f16_e32 v47, v48, v47
	v_fma_f16 v48, v50, s12, v234
	v_fma_f16 v50, v50, s4, v116
	v_add_f16_e32 v252, v253, v252
	v_fma_f16 v253, v52, s19, v120
	v_mul_f16_e32 v122, 0x2de8, v122
	v_add_f16_e32 v16, v87, v16
	v_fma_f16 v87, v51, s16, v236
	v_add_f16_e32 v50, v106, v50
	v_fma_f16 v51, v51, s12, v118
	;; [unrolled: 2-line block ×3, first 2 shown]
	v_mul_f16_e32 v124, 0xb461, v124
	v_add_f16_e32 v50, v51, v50
	v_fma_f16 v51, v52, s14, v120
	v_add_f16_e32 v252, v253, v252
	v_fma_f16 v253, v54, s24, v124
	v_mul_f16_e32 v126, 0xb8d2, v126
	v_add_f16_e32 v50, v51, v50
	v_fma_f16 v51, v53, s16, v122
	v_add_f16_e32 v252, v253, v252
	v_fma_f16 v253, v55, s28, v126
	v_mul_f16_e32 v128, 0xbacd, v128
	v_add_f16_e32 v16, v88, v16
	v_add_f16_e32 v50, v51, v50
	v_fma_f16 v51, v54, s18, v124
	v_add_f16_e32 v252, v253, v252
	v_fma_f16 v253, v56, s27, v128
	v_mul_f16_e32 v130, 0xbbdd, v130
	v_add_f16_e32 v16, v89, v16
	;; [unrolled: 6-line block ×4, first 2 shown]
	v_add_f16_e32 v48, v106, v48
	v_add_f16_e32 v50, v51, v50
	v_fma_f16 v51, v57, s26, v130
	v_add_f16_e32 v253, v105, v253
	v_fma_f16 v254, v59, s3, v134
	v_mul_f16_e32 v136, 0xbb29, v136
	v_add_f16_e32 v16, v99, v16
	v_add_f16_e32 v48, v87, v48
	v_fma_f16 v87, v52, s21, v237
	v_add_f16_e32 v50, v51, v50
	v_fma_f16 v51, v58, s2, -v132
	v_add_f16_e32 v253, v254, v253
	v_fma_f16 v254, v60, s5, v136
	v_mul_f16_e32 v138, 0xbbf7, v138
	v_add_f16_e32 v16, v95, v16
	v_add_f16_e32 v48, v87, v48
	v_fma_f16 v87, v53, s26, v238
	v_add_f16_e32 v51, v105, v51
	v_fma_f16 v52, v59, s3, -v134
	;; [unrolled: 8-line block ×6, first 2 shown]
	v_add_f16_e32 v253, v254, v253
	v_fma_f16 v254, v111, s25, v146
	v_add_f16_e32 v16, v91, v16
	v_add_f16_e32 v48, v87, v48
	v_fma_f16 v87, v58, s3, -v243
	v_add_f16_e32 v51, v52, v51
	v_fma_f16 v52, v85, s20, -v144
	v_add_f16_e32 v253, v254, v253
	v_add_f16_sdwa v16, v97, v16 dst_sel:DWORD dst_unused:UNUSED_PAD src0_sel:WORD_1 src1_sel:DWORD
	v_add_f16_e32 v87, v105, v87
	v_fma_f16 v88, v59, s13, -v245
	v_add_f16_e32 v51, v52, v51
	v_fma_f16 v52, v111, s25, -v146
	;; [unrolled: 2-line block ×3, first 2 shown]
	v_add_f16_e32 v51, v52, v51
	v_lshl_add_u32 v52, v86, 2, v84
	v_pack_b32_f16 v53, v253, v252
	v_pack_b32_f16 v15, v15, v16
	v_add_f16_e32 v87, v88, v87
	v_fma_f16 v88, v61, s25, -v247
	ds_write2_b32 v52, v15, v53 offset1:1
	v_pack_b32_f16 v15, v226, v217
	v_pack_b32_f16 v16, v244, v235
	v_add_f16_e32 v87, v88, v87
	v_fma_f16 v88, v63, s20, -v248
	ds_write2_b32 v52, v16, v15 offset0:2 offset1:3
	v_pack_b32_f16 v15, v190, v181
	v_pack_b32_f16 v16, v208, v199
	v_add_f16_e32 v87, v88, v87
	v_fma_f16 v88, v64, s15, -v249
	ds_write2_b32 v52, v16, v15 offset0:4 offset1:5
	;; [unrolled: 5-line block ×4, first 2 shown]
	v_pack_b32_f16 v15, v22, v21
	v_pack_b32_f16 v16, v20, v19
	v_add_f16_e32 v87, v88, v87
	ds_write2_b32 v52, v16, v15 offset0:10 offset1:11
	v_pack_b32_f16 v15, v45, v43
	v_pack_b32_f16 v16, v42, v41
	ds_write2_b32 v52, v16, v15 offset0:12 offset1:13
	v_pack_b32_f16 v15, v87, v48
	v_pack_b32_f16 v16, v47, v46
	ds_write2_b32 v52, v16, v15 offset0:14 offset1:15
	v_pack_b32_f16 v15, v51, v50
	ds_write_b32 v52, v15 offset:64
.LBB0_13:
	s_or_b64 exec, exec, s[0:1]
	s_waitcnt lgkmcnt(0)
	s_barrier
	ds_read2_b32 v[16:17], v65 offset1:17
	ds_read2_b32 v[18:19], v65 offset0:102 offset1:119
	ds_read2_b32 v[20:21], v65 offset0:238 offset1:255
	;; [unrolled: 1-line block ×3, first 2 shown]
	v_add_u32_e32 v15, 0x400, v65
	ds_read2_b32 v[47:48], v15 offset0:16 offset1:33
	s_waitcnt lgkmcnt(3)
	v_lshrrev_b32_e32 v43, 16, v19
	v_mul_f16_sdwa v96, v23, v43 dst_sel:DWORD dst_unused:UNUSED_PAD src0_sel:WORD_1 src1_sel:DWORD
	s_waitcnt lgkmcnt(2)
	v_lshrrev_b32_e32 v57, 16, v20
	v_fma_f16 v96, v23, v19, v96
	v_mul_f16_sdwa v19, v23, v19 dst_sel:DWORD dst_unused:UNUSED_PAD src0_sel:WORD_1 src1_sel:DWORD
	v_fma_f16 v19, v23, v43, -v19
	v_mul_f16_sdwa v43, v24, v57 dst_sel:DWORD dst_unused:UNUSED_PAD src0_sel:WORD_1 src1_sel:DWORD
	s_waitcnt lgkmcnt(1)
	v_lshrrev_b32_e32 v59, 16, v41
	v_fma_f16 v43, v24, v20, v43
	v_mul_f16_sdwa v20, v24, v20 dst_sel:DWORD dst_unused:UNUSED_PAD src0_sel:WORD_1 src1_sel:DWORD
	v_fma_f16 v20, v24, v57, -v20
	v_mul_f16_sdwa v57, v23, v59 dst_sel:DWORD dst_unused:UNUSED_PAD src0_sel:WORD_1 src1_sel:DWORD
	v_lshrrev_b32_e32 v60, 16, v21
	v_fma_f16 v57, v23, v41, v57
	v_mul_f16_sdwa v41, v23, v41 dst_sel:DWORD dst_unused:UNUSED_PAD src0_sel:WORD_1 src1_sel:DWORD
	ds_read2_b32 v[49:50], v65 offset0:170 offset1:187
	v_fma_f16 v23, v23, v59, -v41
	v_mul_f16_sdwa v41, v24, v60 dst_sel:DWORD dst_unused:UNUSED_PAD src0_sel:WORD_1 src1_sel:DWORD
	v_lshrrev_b32_e32 v62, 16, v42
	v_fma_f16 v41, v24, v21, v41
	v_mul_f16_sdwa v21, v24, v21 dst_sel:DWORD dst_unused:UNUSED_PAD src0_sel:WORD_1 src1_sel:DWORD
	v_fma_f16 v21, v24, v60, -v21
	v_mul_f16_sdwa v24, v25, v62 dst_sel:DWORD dst_unused:UNUSED_PAD src0_sel:WORD_1 src1_sel:DWORD
	s_waitcnt lgkmcnt(1)
	v_lshrrev_b32_e32 v63, 16, v47
	v_fma_f16 v24, v25, v42, v24
	v_mul_f16_sdwa v42, v25, v42 dst_sel:DWORD dst_unused:UNUSED_PAD src0_sel:WORD_1 src1_sel:DWORD
	v_fma_f16 v25, v25, v62, -v42
	v_mul_f16_sdwa v42, v26, v63 dst_sel:DWORD dst_unused:UNUSED_PAD src0_sel:WORD_1 src1_sel:DWORD
	s_waitcnt lgkmcnt(0)
	v_lshrrev_b32_e32 v84, 16, v49
	v_fma_f16 v42, v26, v47, v42
	v_mul_f16_sdwa v47, v26, v47 dst_sel:DWORD dst_unused:UNUSED_PAD src0_sel:WORD_1 src1_sel:DWORD
	ds_read2_b32 v[53:54], v15 offset0:50 offset1:67
	v_fma_f16 v26, v26, v63, -v47
	v_mul_f16_sdwa v47, v29, v84 dst_sel:DWORD dst_unused:UNUSED_PAD src0_sel:WORD_1 src1_sel:DWORD
	v_lshrrev_b32_e32 v85, 16, v48
	v_fma_f16 v47, v29, v49, v47
	v_mul_f16_sdwa v49, v29, v49 dst_sel:DWORD dst_unused:UNUSED_PAD src0_sel:WORD_1 src1_sel:DWORD
	ds_read2_b32 v[55:56], v65 offset0:204 offset1:221
	v_fma_f16 v29, v29, v84, -v49
	v_mul_f16_sdwa v49, v30, v85 dst_sel:DWORD dst_unused:UNUSED_PAD src0_sel:WORD_1 src1_sel:DWORD
	v_lshrrev_b32_e32 v87, 16, v50
	v_fma_f16 v49, v30, v48, v49
	v_mul_f16_sdwa v48, v30, v48 dst_sel:DWORD dst_unused:UNUSED_PAD src0_sel:WORD_1 src1_sel:DWORD
	v_fma_f16 v30, v30, v85, -v48
	v_mul_f16_sdwa v48, v27, v87 dst_sel:DWORD dst_unused:UNUSED_PAD src0_sel:WORD_1 src1_sel:DWORD
	s_waitcnt lgkmcnt(1)
	v_lshrrev_b32_e32 v88, 16, v53
	v_fma_f16 v48, v27, v50, v48
	v_mul_f16_sdwa v50, v27, v50 dst_sel:DWORD dst_unused:UNUSED_PAD src0_sel:WORD_1 src1_sel:DWORD
	v_fma_f16 v27, v27, v87, -v50
	v_mul_f16_sdwa v50, v28, v88 dst_sel:DWORD dst_unused:UNUSED_PAD src0_sel:WORD_1 src1_sel:DWORD
	s_waitcnt lgkmcnt(0)
	v_lshrrev_b32_e32 v91, 16, v55
	v_fma_f16 v50, v28, v53, v50
	v_mul_f16_sdwa v53, v28, v53 dst_sel:DWORD dst_unused:UNUSED_PAD src0_sel:WORD_1 src1_sel:DWORD
	ds_read_b32 v90, v65 offset:1360
	v_fma_f16 v28, v28, v88, -v53
	v_mul_f16_sdwa v53, v31, v91 dst_sel:DWORD dst_unused:UNUSED_PAD src0_sel:WORD_1 src1_sel:DWORD
	v_lshrrev_b32_e32 v92, 16, v54
	v_fma_f16 v53, v31, v55, v53
	v_mul_f16_sdwa v55, v31, v55 dst_sel:DWORD dst_unused:UNUSED_PAD src0_sel:WORD_1 src1_sel:DWORD
	v_fma_f16 v31, v31, v91, -v55
	v_mul_f16_sdwa v55, v32, v92 dst_sel:DWORD dst_unused:UNUSED_PAD src0_sel:WORD_1 src1_sel:DWORD
	v_lshrrev_b32_e32 v94, 16, v56
	v_fma_f16 v55, v32, v54, v55
	v_mul_f16_sdwa v54, v32, v54 dst_sel:DWORD dst_unused:UNUSED_PAD src0_sel:WORD_1 src1_sel:DWORD
	v_fma_f16 v32, v32, v92, -v54
	v_mul_f16_sdwa v54, v33, v94 dst_sel:DWORD dst_unused:UNUSED_PAD src0_sel:WORD_1 src1_sel:DWORD
	s_waitcnt lgkmcnt(0)
	v_lshrrev_b32_e32 v95, 16, v90
	v_fma_f16 v54, v33, v56, v54
	v_mul_f16_sdwa v56, v33, v56 dst_sel:DWORD dst_unused:UNUSED_PAD src0_sel:WORD_1 src1_sel:DWORD
	v_fma_f16 v33, v33, v94, -v56
	v_mul_f16_sdwa v56, v34, v95 dst_sel:DWORD dst_unused:UNUSED_PAD src0_sel:WORD_1 src1_sel:DWORD
	v_mul_f16_sdwa v59, v34, v90 dst_sel:DWORD dst_unused:UNUSED_PAD src0_sel:WORD_1 src1_sel:DWORD
	v_add_f16_e32 v60, v96, v43
	v_lshrrev_b32_e32 v22, 16, v16
	v_fma_f16 v56, v34, v90, v56
	v_fma_f16 v34, v34, v95, -v59
	v_add_f16_e32 v59, v16, v96
	v_fma_f16 v16, v60, -0.5, v16
	v_sub_f16_e32 v60, v19, v20
	s_mov_b32 s0, 0xbaee
	s_movk_i32 s1, 0x3aee
	v_fma_f16 v62, v60, s0, v16
	v_fma_f16 v16, v60, s1, v16
	v_add_f16_e32 v60, v22, v19
	v_add_f16_e32 v19, v19, v20
	ds_read2_b32 v[45:46], v65 offset0:34 offset1:51
	v_add_f16_e32 v59, v59, v43
	v_add_f16_e32 v60, v60, v20
	v_fma_f16 v19, v19, -0.5, v22
	v_sub_f16_e32 v20, v96, v43
	v_add_f16_e32 v43, v57, v41
	v_lshrrev_b32_e32 v58, 16, v17
	v_fma_f16 v22, v20, s1, v19
	v_fma_f16 v19, v20, s0, v19
	v_add_f16_e32 v20, v17, v57
	v_fma_f16 v17, v43, -0.5, v17
	v_sub_f16_e32 v43, v23, v21
	v_fma_f16 v63, v43, s0, v17
	v_fma_f16 v17, v43, s1, v17
	v_add_f16_e32 v43, v58, v23
	v_add_f16_e32 v43, v43, v21
	;; [unrolled: 1-line block ×3, first 2 shown]
	v_fma_f16 v21, v21, -0.5, v58
	v_sub_f16_e32 v23, v57, v41
	v_add_f16_e32 v57, v24, v42
	s_waitcnt lgkmcnt(0)
	v_lshrrev_b32_e32 v61, 16, v45
	v_add_f16_e32 v20, v20, v41
	v_fma_f16 v41, v23, s1, v21
	v_fma_f16 v21, v23, s0, v21
	v_add_f16_e32 v23, v45, v24
	v_fma_f16 v45, v57, -0.5, v45
	v_sub_f16_e32 v57, v25, v26
	ds_read2_b32 v[51:52], v65 offset0:68 offset1:85
	v_fma_f16 v58, v57, s0, v45
	v_fma_f16 v45, v57, s1, v45
	v_add_f16_e32 v57, v61, v25
	v_add_f16_e32 v25, v25, v26
	;; [unrolled: 1-line block ×3, first 2 shown]
	v_fma_f16 v25, v25, -0.5, v61
	v_sub_f16_e32 v24, v24, v42
	v_add_f16_e32 v42, v47, v49
	v_lshrrev_b32_e32 v64, 16, v46
	v_add_f16_e32 v57, v57, v26
	v_fma_f16 v26, v24, s1, v25
	v_fma_f16 v24, v24, s0, v25
	v_add_f16_e32 v25, v46, v47
	v_fma_f16 v42, v42, -0.5, v46
	v_sub_f16_e32 v46, v29, v30
	v_fma_f16 v61, v46, s0, v42
	v_fma_f16 v42, v46, s1, v42
	v_add_f16_e32 v46, v64, v29
	v_add_f16_e32 v29, v29, v30
	;; [unrolled: 1-line block ×4, first 2 shown]
	v_fma_f16 v29, v29, -0.5, v64
	v_sub_f16_e32 v30, v47, v49
	v_add_f16_e32 v49, v48, v50
	s_waitcnt lgkmcnt(0)
	v_lshrrev_b32_e32 v86, 16, v51
	v_fma_f16 v47, v30, s1, v29
	v_fma_f16 v29, v30, s0, v29
	v_add_f16_e32 v30, v51, v48
	v_fma_f16 v49, v49, -0.5, v51
	v_sub_f16_e32 v51, v27, v28
	v_fma_f16 v64, v51, s0, v49
	v_fma_f16 v49, v51, s1, v49
	v_add_f16_e32 v51, v86, v27
	v_add_f16_e32 v27, v27, v28
	;; [unrolled: 1-line block ×4, first 2 shown]
	v_fma_f16 v27, v27, -0.5, v86
	v_sub_f16_e32 v28, v48, v50
	v_add_f16_e32 v50, v53, v55
	v_lshrrev_b32_e32 v89, 16, v52
	v_fma_f16 v48, v28, s1, v27
	v_fma_f16 v27, v28, s0, v27
	v_add_f16_e32 v28, v52, v53
	v_fma_f16 v50, v50, -0.5, v52
	v_sub_f16_e32 v52, v31, v32
	v_fma_f16 v84, v52, s0, v50
	v_fma_f16 v50, v52, s1, v50
	v_add_f16_e32 v52, v89, v31
	v_add_f16_e32 v31, v31, v32
	;; [unrolled: 1-line block ×4, first 2 shown]
	v_fma_f16 v31, v31, -0.5, v89
	v_sub_f16_e32 v32, v53, v55
	v_add_f16_e32 v55, v54, v56
	v_lshrrev_b32_e32 v93, 16, v18
	v_fma_f16 v53, v32, s1, v31
	v_fma_f16 v31, v32, s0, v31
	v_add_f16_e32 v32, v18, v54
	v_fma_f16 v18, v55, -0.5, v18
	v_sub_f16_e32 v55, v33, v34
	v_fma_f16 v85, v55, s0, v18
	v_fma_f16 v18, v55, s1, v18
	v_add_f16_e32 v55, v93, v33
	v_add_f16_e32 v33, v33, v34
	v_pack_b32_f16 v16, v16, v19
	v_pack_b32_f16 v19, v20, v43
	v_add_f16_e32 v55, v55, v34
	v_fma_f16 v33, v33, -0.5, v93
	v_sub_f16_e32 v34, v54, v56
	s_barrier
	ds_write2_b32 v65, v16, v19 offset0:34 offset1:51
	v_pack_b32_f16 v16, v63, v41
	v_pack_b32_f16 v17, v17, v21
	v_fma_f16 v54, v34, s1, v33
	v_fma_f16 v33, v34, s0, v33
	v_pack_b32_f16 v34, v59, v60
	v_pack_b32_f16 v22, v62, v22
	ds_write2_b32 v65, v16, v17 offset0:68 offset1:85
	v_pack_b32_f16 v16, v23, v57
	v_pack_b32_f16 v17, v58, v26
	ds_write2_b32 v65, v34, v22 offset1:17
	ds_write2_b32 v100, v16, v17 offset0:102 offset1:119
	v_pack_b32_f16 v16, v45, v24
	ds_write_b32 v100, v16 offset:544
	v_pack_b32_f16 v16, v25, v46
	v_pack_b32_f16 v17, v61, v47
	ds_write2_b32 v101, v16, v17 offset0:153 offset1:170
	v_pack_b32_f16 v16, v42, v29
	ds_write_b32 v101, v16 offset:748
	v_pack_b32_f16 v16, v30, v51
	v_pack_b32_f16 v17, v64, v48
	;; [unrolled: 5-line block ×3, first 2 shown]
	v_add_u32_e32 v19, 0x200, v103
	v_add_f16_e32 v32, v32, v56
	ds_write2_b32 v19, v16, v17 offset0:127 offset1:144
	v_pack_b32_f16 v16, v50, v31
	ds_write_b32 v103, v16 offset:1156
	v_pack_b32_f16 v16, v32, v55
	v_pack_b32_f16 v17, v85, v54
	v_add_u32_e32 v19, 0x400, v104
	ds_write2_b32 v19, v16, v17 offset0:50 offset1:67
	v_pack_b32_f16 v16, v18, v33
	ds_write_b32 v104, v16 offset:1360
	s_waitcnt lgkmcnt(0)
	s_barrier
	ds_read2_b32 v[16:17], v65 offset0:34 offset1:51
	ds_read2_b32 v[18:19], v65 offset0:102 offset1:119
	ds_read2_b32 v[20:21], v65 offset1:17
	ds_read2_b32 v[22:23], v65 offset0:136 offset1:153
	ds_read2_b32 v[24:25], v65 offset0:204 offset1:221
	s_waitcnt lgkmcnt(4)
	v_lshrrev_b32_e32 v34, 16, v17
	v_mul_f16_sdwa v62, v0, v34 dst_sel:DWORD dst_unused:UNUSED_PAD src0_sel:WORD_1 src1_sel:DWORD
	s_waitcnt lgkmcnt(3)
	v_lshrrev_b32_e32 v43, 16, v18
	v_fma_f16 v62, v0, v17, v62
	v_mul_f16_sdwa v17, v0, v17 dst_sel:DWORD dst_unused:UNUSED_PAD src0_sel:WORD_1 src1_sel:DWORD
	ds_read2_b32 v[26:27], v65 offset0:238 offset1:255
	v_fma_f16 v0, v0, v34, -v17
	v_mul_f16_sdwa v17, v1, v43 dst_sel:DWORD dst_unused:UNUSED_PAD src0_sel:WORD_1 src1_sel:DWORD
	s_waitcnt lgkmcnt(2)
	v_lshrrev_b32_e32 v45, 16, v23
	v_fma_f16 v17, v1, v18, v17
	v_mul_f16_sdwa v18, v1, v18 dst_sel:DWORD dst_unused:UNUSED_PAD src0_sel:WORD_1 src1_sel:DWORD
	ds_read2_b32 v[30:31], v65 offset0:68 offset1:85
	v_fma_f16 v1, v1, v43, -v18
	v_mul_f16_sdwa v18, v2, v45 dst_sel:DWORD dst_unused:UNUSED_PAD src0_sel:WORD_1 src1_sel:DWORD
	s_waitcnt lgkmcnt(2)
	v_lshrrev_b32_e32 v46, 16, v24
	v_fma_f16 v18, v2, v23, v18
	v_mul_f16_sdwa v23, v2, v23 dst_sel:DWORD dst_unused:UNUSED_PAD src0_sel:WORD_1 src1_sel:DWORD
	v_fma_f16 v2, v2, v45, -v23
	v_mul_f16_sdwa v23, v3, v46 dst_sel:DWORD dst_unused:UNUSED_PAD src0_sel:WORD_1 src1_sel:DWORD
	s_waitcnt lgkmcnt(1)
	v_lshrrev_b32_e32 v47, 16, v27
	v_fma_f16 v23, v3, v24, v23
	v_mul_f16_sdwa v24, v3, v24 dst_sel:DWORD dst_unused:UNUSED_PAD src0_sel:WORD_1 src1_sel:DWORD
	ds_read2_b32 v[32:33], v65 offset0:170 offset1:187
	v_fma_f16 v3, v3, v46, -v24
	v_mul_f16_sdwa v24, v35, v47 dst_sel:DWORD dst_unused:UNUSED_PAD src0_sel:WORD_1 src1_sel:DWORD
	s_waitcnt lgkmcnt(1)
	v_lshrrev_b32_e32 v49, 16, v30
	v_fma_f16 v24, v35, v27, v24
	v_mul_f16_sdwa v27, v35, v27 dst_sel:DWORD dst_unused:UNUSED_PAD src0_sel:WORD_1 src1_sel:DWORD
	ds_read2_b32 v[28:29], v15 offset0:50 offset1:67
	v_fma_f16 v27, v35, v47, -v27
	v_mul_f16_sdwa v35, v4, v49 dst_sel:DWORD dst_unused:UNUSED_PAD src0_sel:WORD_1 src1_sel:DWORD
	v_lshrrev_b32_e32 v50, 16, v19
	v_fma_f16 v35, v4, v30, v35
	v_mul_f16_sdwa v30, v4, v30 dst_sel:DWORD dst_unused:UNUSED_PAD src0_sel:WORD_1 src1_sel:DWORD
	ds_read2_b32 v[41:42], v15 offset0:16 offset1:33
	v_fma_f16 v4, v4, v49, -v30
	v_mul_f16_sdwa v30, v5, v50 dst_sel:DWORD dst_unused:UNUSED_PAD src0_sel:WORD_1 src1_sel:DWORD
	s_waitcnt lgkmcnt(2)
	v_lshrrev_b32_e32 v51, 16, v32
	v_fma_f16 v30, v5, v19, v30
	v_mul_f16_sdwa v19, v5, v19 dst_sel:DWORD dst_unused:UNUSED_PAD src0_sel:WORD_1 src1_sel:DWORD
	v_fma_f16 v5, v5, v50, -v19
	v_mul_f16_sdwa v19, v6, v51 dst_sel:DWORD dst_unused:UNUSED_PAD src0_sel:WORD_1 src1_sel:DWORD
	s_waitcnt lgkmcnt(1)
	v_lshrrev_b32_e32 v48, 16, v28
	v_lshrrev_b32_e32 v52, 16, v25
	v_fma_f16 v19, v6, v32, v19
	v_mul_f16_sdwa v32, v6, v32 dst_sel:DWORD dst_unused:UNUSED_PAD src0_sel:WORD_1 src1_sel:DWORD
	v_mul_f16_sdwa v34, v36, v48 dst_sel:DWORD dst_unused:UNUSED_PAD src0_sel:WORD_1 src1_sel:DWORD
	v_fma_f16 v6, v6, v51, -v32
	v_mul_f16_sdwa v32, v7, v52 dst_sel:DWORD dst_unused:UNUSED_PAD src0_sel:WORD_1 src1_sel:DWORD
	s_waitcnt lgkmcnt(0)
	v_lshrrev_b32_e32 v53, 16, v41
	v_fma_f16 v34, v36, v28, v34
	v_mul_f16_sdwa v28, v36, v28 dst_sel:DWORD dst_unused:UNUSED_PAD src0_sel:WORD_1 src1_sel:DWORD
	v_fma_f16 v32, v7, v25, v32
	v_mul_f16_sdwa v25, v7, v25 dst_sel:DWORD dst_unused:UNUSED_PAD src0_sel:WORD_1 src1_sel:DWORD
	v_lshrrev_b32_e32 v54, 16, v29
	v_fma_f16 v28, v36, v48, -v28
	v_fma_f16 v7, v7, v52, -v25
	v_mul_f16_sdwa v25, v37, v53 dst_sel:DWORD dst_unused:UNUSED_PAD src0_sel:WORD_1 src1_sel:DWORD
	v_mul_f16_sdwa v36, v37, v41 dst_sel:DWORD dst_unused:UNUSED_PAD src0_sel:WORD_1 src1_sel:DWORD
	v_fma_f16 v25, v37, v41, v25
	v_fma_f16 v36, v37, v53, -v36
	v_mul_f16_sdwa v37, v38, v54 dst_sel:DWORD dst_unused:UNUSED_PAD src0_sel:WORD_1 src1_sel:DWORD
	v_lshrrev_b32_e32 v55, 16, v31
	v_fma_f16 v37, v38, v29, v37
	v_mul_f16_sdwa v29, v38, v29 dst_sel:DWORD dst_unused:UNUSED_PAD src0_sel:WORD_1 src1_sel:DWORD
	v_fma_f16 v29, v38, v54, -v29
	v_mul_f16_sdwa v38, v8, v55 dst_sel:DWORD dst_unused:UNUSED_PAD src0_sel:WORD_1 src1_sel:DWORD
	v_lshrrev_b32_e32 v57, 16, v22
	v_fma_f16 v38, v8, v31, v38
	v_mul_f16_sdwa v31, v8, v31 dst_sel:DWORD dst_unused:UNUSED_PAD src0_sel:WORD_1 src1_sel:DWORD
	v_fma_f16 v8, v8, v55, -v31
	v_mul_f16_sdwa v31, v9, v57 dst_sel:DWORD dst_unused:UNUSED_PAD src0_sel:WORD_1 src1_sel:DWORD
	ds_read_b32 v56, v65 offset:1360
	v_lshrrev_b32_e32 v58, 16, v33
	v_fma_f16 v31, v9, v22, v31
	v_mul_f16_sdwa v22, v9, v22 dst_sel:DWORD dst_unused:UNUSED_PAD src0_sel:WORD_1 src1_sel:DWORD
	v_fma_f16 v9, v9, v57, -v22
	v_mul_f16_sdwa v22, v10, v58 dst_sel:DWORD dst_unused:UNUSED_PAD src0_sel:WORD_1 src1_sel:DWORD
	v_lshrrev_b32_e32 v59, 16, v26
	v_fma_f16 v22, v10, v33, v22
	v_mul_f16_sdwa v33, v10, v33 dst_sel:DWORD dst_unused:UNUSED_PAD src0_sel:WORD_1 src1_sel:DWORD
	v_fma_f16 v10, v10, v58, -v33
	v_mul_f16_sdwa v33, v11, v59 dst_sel:DWORD dst_unused:UNUSED_PAD src0_sel:WORD_1 src1_sel:DWORD
	v_lshrrev_b32_e32 v60, 16, v42
	v_fma_f16 v33, v11, v26, v33
	v_mul_f16_sdwa v26, v11, v26 dst_sel:DWORD dst_unused:UNUSED_PAD src0_sel:WORD_1 src1_sel:DWORD
	s_waitcnt lgkmcnt(0)
	v_lshrrev_b32_e32 v61, 16, v56
	v_fma_f16 v11, v11, v59, -v26
	v_mul_f16_sdwa v26, v39, v60 dst_sel:DWORD dst_unused:UNUSED_PAD src0_sel:WORD_1 src1_sel:DWORD
	v_mul_f16_sdwa v41, v39, v42 dst_sel:DWORD dst_unused:UNUSED_PAD src0_sel:WORD_1 src1_sel:DWORD
	v_fma_f16 v26, v39, v42, v26
	v_fma_f16 v39, v39, v60, -v41
	v_mul_f16_sdwa v41, v40, v61 dst_sel:DWORD dst_unused:UNUSED_PAD src0_sel:WORD_1 src1_sel:DWORD
	v_mul_f16_sdwa v42, v40, v56 dst_sel:DWORD dst_unused:UNUSED_PAD src0_sel:WORD_1 src1_sel:DWORD
	v_fma_f16 v41, v40, v56, v41
	v_fma_f16 v40, v40, v61, -v42
	v_add_f16_e32 v42, v62, v34
	v_add_f16_e32 v43, v0, v28
	v_sub_f16_e32 v0, v0, v28
	v_add_f16_e32 v28, v17, v24
	v_add_f16_e32 v45, v1, v27
	v_sub_f16_e32 v34, v62, v34
	v_sub_f16_e32 v17, v17, v24
	;; [unrolled: 1-line block ×3, first 2 shown]
	v_add_f16_e32 v24, v18, v23
	v_add_f16_e32 v27, v2, v3
	v_sub_f16_e32 v18, v23, v18
	v_sub_f16_e32 v2, v3, v2
	v_add_f16_e32 v3, v28, v42
	v_add_f16_e32 v23, v45, v43
	v_sub_f16_e32 v46, v28, v42
	v_sub_f16_e32 v47, v45, v43
	;; [unrolled: 1-line block ×6, first 2 shown]
	v_add_f16_e32 v48, v18, v17
	v_add_f16_e32 v49, v2, v1
	v_sub_f16_e32 v50, v18, v17
	v_sub_f16_e32 v51, v2, v1
	;; [unrolled: 1-line block ×4, first 2 shown]
	v_add_f16_e32 v3, v24, v3
	v_add_f16_e32 v23, v27, v23
	v_sub_f16_e32 v18, v34, v18
	v_sub_f16_e32 v2, v0, v2
	v_add_f16_e32 v24, v48, v34
	v_add_f16_e32 v0, v49, v0
	;; [unrolled: 1-line block ×3, first 2 shown]
	v_add_f16_sdwa v20, v20, v23 dst_sel:DWORD dst_unused:UNUSED_PAD src0_sel:WORD_1 src1_sel:DWORD
	v_mul_f16_e32 v34, 0x3a52, v42
	v_mul_f16_e32 v42, 0x3a52, v43
	s_movk_i32 s0, 0x2b26
	v_mul_f16_e32 v43, 0x2b26, v28
	v_mul_f16_e32 v48, 0x2b26, v45
	;; [unrolled: 1-line block ×4, first 2 shown]
	s_mov_b32 s1, 0xbb00
	v_mul_f16_e32 v51, 0xbb00, v17
	v_mul_f16_e32 v52, 0xbb00, v1
	s_mov_b32 s2, 0xbcab
	s_movk_i32 s3, 0x39e0
	s_mov_b32 s4, 0xb9e0
	s_mov_b32 s5, 0xb574
	s_movk_i32 s12, 0x3574
	v_fma_f16 v3, v3, s2, v27
	v_fma_f16 v23, v23, s2, v20
	;; [unrolled: 1-line block ×4, first 2 shown]
	v_fma_f16 v43, v46, s3, -v43
	v_fma_f16 v48, v47, s3, -v48
	;; [unrolled: 1-line block ×4, first 2 shown]
	v_fma_f16 v46, v18, s5, v49
	v_fma_f16 v47, v2, s5, v50
	v_fma_f16 v1, v1, s1, -v50
	v_fma_f16 v18, v18, s12, -v51
	;; [unrolled: 1-line block ×3, first 2 shown]
	s_mov_b32 s13, 0xb70e
	v_fma_f16 v17, v17, s1, -v49
	v_add_f16_e32 v28, v28, v3
	v_add_f16_e32 v45, v45, v23
	;; [unrolled: 1-line block ×6, first 2 shown]
	v_fma_f16 v34, v24, s13, v46
	v_fma_f16 v42, v0, s13, v47
	;; [unrolled: 1-line block ×6, first 2 shown]
	v_add_f16_e32 v2, v42, v28
	v_sub_f16_e32 v24, v45, v34
	v_add_f16_e32 v46, v0, v3
	v_sub_f16_e32 v47, v23, v18
	v_sub_f16_e32 v0, v3, v0
	v_add_f16_e32 v3, v18, v23
	v_sub_f16_e32 v18, v28, v42
	v_add_f16_e32 v23, v34, v45
	v_add_f16_e32 v28, v35, v37
	;; [unrolled: 1-line block ×3, first 2 shown]
	v_sub_f16_e32 v35, v35, v37
	v_sub_f16_e32 v4, v4, v29
	v_add_f16_e32 v29, v30, v25
	v_add_f16_e32 v37, v5, v36
	v_sub_f16_e32 v25, v30, v25
	v_sub_f16_e32 v5, v5, v36
	v_add_f16_e32 v30, v19, v32
	v_add_f16_e32 v36, v6, v7
	;; [unrolled: 4-line block ×3, first 2 shown]
	v_sub_f16_e32 v49, v43, v1
	v_add_f16_e32 v50, v17, v48
	v_add_f16_e32 v1, v1, v43
	v_sub_f16_e32 v17, v48, v17
	v_sub_f16_e32 v42, v29, v28
	;; [unrolled: 1-line block ×7, first 2 shown]
	v_add_f16_e32 v45, v19, v25
	v_add_f16_e32 v48, v6, v5
	v_sub_f16_e32 v51, v19, v25
	v_sub_f16_e32 v52, v6, v5
	;; [unrolled: 1-line block ×4, first 2 shown]
	v_add_f16_e32 v7, v30, v7
	v_add_f16_e32 v30, v36, v32
	v_sub_f16_e32 v19, v35, v19
	v_sub_f16_e32 v6, v4, v6
	v_add_f16_e32 v32, v45, v35
	v_add_f16_e32 v4, v48, v4
	;; [unrolled: 1-line block ×3, first 2 shown]
	v_add_f16_sdwa v21, v21, v30 dst_sel:DWORD dst_unused:UNUSED_PAD src0_sel:WORD_1 src1_sel:DWORD
	v_mul_f16_e32 v28, 0x3a52, v28
	v_mul_f16_e32 v34, 0x3a52, v34
	v_mul_f16_e32 v36, 0x2b26, v29
	v_mul_f16_e32 v45, 0x2b26, v37
	v_mul_f16_e32 v48, 0x3846, v51
	v_mul_f16_e32 v51, 0x3846, v52
	v_mul_f16_e32 v52, 0xbb00, v25
	v_mul_f16_e32 v53, 0xbb00, v5
	v_fma_f16 v7, v7, s2, v35
	v_fma_f16 v30, v30, s2, v21
	;; [unrolled: 1-line block ×4, first 2 shown]
	v_fma_f16 v36, v42, s3, -v36
	v_fma_f16 v45, v43, s3, -v45
	;; [unrolled: 1-line block ×4, first 2 shown]
	v_fma_f16 v42, v19, s5, v48
	v_fma_f16 v43, v6, s5, v51
	v_fma_f16 v5, v5, s1, -v51
	v_fma_f16 v19, v19, s12, -v52
	;; [unrolled: 1-line block ×4, first 2 shown]
	v_add_f16_e32 v29, v29, v7
	v_add_f16_e32 v37, v37, v30
	;; [unrolled: 1-line block ×6, first 2 shown]
	v_fma_f16 v30, v32, s13, v42
	v_fma_f16 v34, v4, s13, v43
	;; [unrolled: 1-line block ×6, first 2 shown]
	v_add_f16_e32 v6, v34, v29
	v_sub_f16_e32 v32, v37, v30
	v_add_f16_e32 v42, v4, v7
	v_sub_f16_e32 v43, v28, v19
	v_sub_f16_e32 v48, v36, v5
	v_add_f16_e32 v5, v5, v36
	v_sub_f16_e32 v4, v7, v4
	v_add_f16_e32 v7, v19, v28
	;; [unrolled: 2-line block ×3, first 2 shown]
	v_add_f16_e32 v29, v38, v41
	v_add_f16_e32 v30, v8, v40
	;; [unrolled: 1-line block ×4, first 2 shown]
	v_pack_b32_f16 v1, v1, v17
	v_pack_b32_f16 v0, v0, v3
	v_sub_f16_e32 v34, v38, v41
	v_sub_f16_e32 v8, v8, v40
	;; [unrolled: 1-line block ×4, first 2 shown]
	v_add_f16_e32 v31, v22, v33
	v_add_f16_e32 v38, v10, v11
	v_sub_f16_e32 v22, v33, v22
	v_sub_f16_e32 v10, v11, v10
	v_add_f16_e32 v11, v36, v29
	v_add_f16_e32 v33, v37, v30
	ds_write2_b32 v65, v1, v0 offset0:204 offset1:255
	v_pack_b32_f16 v0, v18, v23
	v_add_f16_e32 v51, v25, v45
	v_sub_f16_e32 v25, v45, v25
	v_sub_f16_e32 v39, v36, v29
	;; [unrolled: 1-line block ×7, first 2 shown]
	v_add_f16_e32 v41, v22, v26
	v_add_f16_e32 v45, v10, v9
	v_sub_f16_e32 v52, v22, v26
	v_sub_f16_e32 v53, v10, v9
	;; [unrolled: 1-line block ×4, first 2 shown]
	v_add_f16_e32 v11, v31, v11
	v_add_f16_e32 v31, v38, v33
	v_pack_b32_f16 v20, v27, v20
	ds_write_b32 v65, v0 offset:1224
	v_pack_b32_f16 v0, v35, v21
	v_sub_f16_e32 v22, v34, v22
	v_sub_f16_e32 v10, v8, v10
	v_add_f16_e32 v33, v41, v34
	v_add_f16_e32 v8, v45, v8
	;; [unrolled: 1-line block ×3, first 2 shown]
	v_add_f16_sdwa v16, v16, v31 dst_sel:DWORD dst_unused:UNUSED_PAD src0_sel:WORD_1 src1_sel:DWORD
	v_mul_f16_e32 v29, 0x3a52, v29
	v_mul_f16_e32 v30, 0x3a52, v30
	;; [unrolled: 1-line block ×8, first 2 shown]
	ds_write2_b32 v65, v20, v0 offset1:17
	v_pack_b32_f16 v0, v6, v32
	v_pack_b32_f16 v1, v42, v43
	v_fma_f16 v11, v11, s2, v34
	v_fma_f16 v31, v31, s2, v16
	;; [unrolled: 1-line block ×4, first 2 shown]
	v_fma_f16 v38, v39, s3, -v38
	v_fma_f16 v41, v40, s3, -v41
	;; [unrolled: 1-line block ×4, first 2 shown]
	v_fma_f16 v39, v22, s5, v45
	v_fma_f16 v40, v10, s5, v52
	v_fma_f16 v9, v9, s1, -v52
	v_fma_f16 v22, v22, s12, -v53
	v_fma_f16 v10, v10, s12, -v54
	ds_write2_b32 v107, v0, v1 offset0:51 offset1:102
	v_pack_b32_f16 v0, v48, v51
	v_pack_b32_f16 v1, v5, v25
	v_fma_f16 v26, v26, s1, -v45
	v_add_f16_e32 v36, v36, v11
	v_add_f16_e32 v37, v37, v31
	;; [unrolled: 1-line block ×6, first 2 shown]
	v_fma_f16 v30, v33, s13, v39
	v_fma_f16 v31, v8, s13, v40
	;; [unrolled: 1-line block ×5, first 2 shown]
	ds_write2_b32 v107, v0, v1 offset0:153 offset1:204
	v_pack_b32_f16 v0, v4, v7
	v_pack_b32_f16 v1, v19, v28
	v_add_u32_e32 v3, 0x200, v107
	v_fma_f16 v26, v33, s13, v26
	v_add_f16_e32 v10, v31, v36
	v_sub_f16_e32 v33, v37, v30
	v_add_f16_e32 v39, v8, v11
	v_sub_f16_e32 v40, v29, v22
	v_pack_b32_f16 v2, v2, v24
	ds_write2_b32 v3, v0, v1 offset0:127 offset1:178
	v_pack_b32_f16 v0, v34, v16
	v_sub_f16_e32 v45, v38, v9
	v_add_f16_e32 v52, v26, v41
	v_add_f16_e32 v9, v9, v38
	v_sub_f16_e32 v26, v41, v26
	ds_write2_b32 v65, v0, v2 offset0:34 offset1:51
	v_pack_b32_f16 v0, v10, v33
	v_pack_b32_f16 v1, v39, v40
	v_sub_f16_e32 v8, v11, v8
	v_add_f16_e32 v11, v22, v29
	v_sub_f16_e32 v22, v36, v31
	v_add_f16_e32 v29, v30, v37
	ds_write2_b32 v44, v0, v1 offset0:51 offset1:102
	v_pack_b32_f16 v0, v45, v52
	v_pack_b32_f16 v1, v9, v26
	;; [unrolled: 1-line block ×4, first 2 shown]
	ds_write2_b32 v44, v0, v1 offset0:153 offset1:204
	v_pack_b32_f16 v0, v8, v11
	v_pack_b32_f16 v1, v22, v29
	v_add_u32_e32 v2, 0x200, v44
	ds_write2_b32 v65, v24, v27 offset0:102 offset1:153
	ds_write2_b32 v2, v0, v1 offset0:127 offset1:178
	s_waitcnt lgkmcnt(0)
	s_barrier
	ds_read2_b32 v[0:1], v65 offset1:21
	s_mov_b32 s12, 0x16f26017
	s_mov_b32 s13, 0x3f66f260
	v_mad_u64_u32 v[3:4], s[0:1], s10, v14, 0
	s_waitcnt lgkmcnt(0)
	v_lshrrev_b32_e32 v9, 16, v0
	v_mul_f16_sdwa v2, v83, v9 dst_sel:DWORD dst_unused:UNUSED_PAD src0_sel:WORD_1 src1_sel:DWORD
	v_fma_f16 v2, v83, v0, v2
	v_cvt_f32_f16_e32 v2, v2
	s_movk_i32 s15, 0x1ff
	s_movk_i32 s10, 0xffe
	v_mul_f16_sdwa v0, v83, v0 dst_sel:DWORD dst_unused:UNUSED_PAD src0_sel:WORD_1 src1_sel:DWORD
	v_cvt_f64_f32_e32 v[5:6], v2
	v_mov_b32_e32 v2, v4
	v_mad_u64_u32 v[7:8], s[0:1], s11, v14, v[2:3]
	v_mul_f64 v[5:6], v[5:6], s[12:13]
	v_fma_f16 v0, v83, v9, -v0
	v_mov_b32_e32 v4, v7
	v_cvt_f32_f16_e32 v0, v0
	s_movk_i32 s11, 0x40f
	s_mov_b32 s14, 0x8000
	v_lshlrev_b64 v[3:4], 2, v[3:4]
	v_and_or_b32 v2, v6, s15, v5
	v_cmp_ne_u32_e64 s[0:1], 0, v2
	v_cndmask_b32_e64 v2, 0, 1, s[0:1]
	v_lshrrev_b32_e32 v5, 8, v6
	v_bfe_u32 v7, v6, 20, 11
	v_and_or_b32 v5, v5, s10, v2
	v_sub_u32_e32 v8, 0x3f1, v7
	v_or_b32_e32 v2, 0x1000, v5
	v_med3_i32 v8, v8, 0, 13
	v_lshrrev_b32_e32 v10, v8, v2
	v_lshlrev_b32_e32 v8, v8, v10
	v_cmp_ne_u32_e64 s[0:1], v8, v2
	v_cndmask_b32_e64 v2, 0, 1, s[0:1]
	v_or_b32_e32 v2, v10, v2
	v_add_u32_e32 v10, 0xfffffc10, v7
	v_lshl_or_b32 v7, v10, 12, v5
	v_cmp_gt_i32_e64 s[0:1], 1, v10
	v_cndmask_b32_e64 v2, v7, v2, s[0:1]
	v_and_b32_e32 v7, 7, v2
	v_cmp_lt_i32_e64 s[0:1], 5, v7
	v_cmp_eq_u32_e64 s[2:3], 3, v7
	v_cvt_f64_f32_e32 v[7:8], v0
	v_lshrrev_b32_e32 v2, 2, v2
	s_or_b64 s[0:1], s[2:3], s[0:1]
	v_addc_co_u32_e64 v9, s[0:1], 0, v2, s[0:1]
	v_mul_f64 v[7:8], v[7:8], s[12:13]
	v_mov_b32_e32 v2, 0x7c00
	v_cmp_gt_i32_e64 s[0:1], 31, v10
	v_cndmask_b32_e64 v0, v2, v9, s[0:1]
	v_cmp_ne_u32_e64 s[0:1], 0, v5
	v_cndmask_b32_e64 v5, 0, 1, s[0:1]
	v_lshl_or_b32 v5, v5, 9, v2
	v_cmp_eq_u32_e64 s[0:1], s11, v10
	v_cndmask_b32_e64 v0, v0, v5, s[0:1]
	v_lshrrev_b32_e32 v5, 16, v6
	v_and_or_b32 v9, v5, s14, v0
	v_and_or_b32 v0, v8, s15, v7
	v_cmp_ne_u32_e64 s[0:1], 0, v0
	v_cndmask_b32_e64 v0, 0, 1, s[0:1]
	v_lshrrev_b32_e32 v5, 8, v8
	v_bfe_u32 v6, v8, 20, 11
	v_and_or_b32 v0, v5, s10, v0
	v_sub_u32_e32 v7, 0x3f1, v6
	v_or_b32_e32 v5, 0x1000, v0
	v_med3_i32 v7, v7, 0, 13
	v_lshrrev_b32_e32 v10, v7, v5
	v_lshlrev_b32_e32 v7, v7, v10
	v_cmp_ne_u32_e64 s[0:1], v7, v5
	v_cndmask_b32_e64 v5, 0, 1, s[0:1]
	v_add_u32_e32 v7, 0xfffffc10, v6
	v_or_b32_e32 v5, v10, v5
	v_lshl_or_b32 v6, v7, 12, v0
	v_cmp_gt_i32_e64 s[0:1], 1, v7
	v_cndmask_b32_e64 v5, v6, v5, s[0:1]
	v_and_b32_e32 v6, 7, v5
	v_cmp_lt_i32_e64 s[0:1], 5, v6
	v_cmp_eq_u32_e64 s[2:3], 3, v6
	v_lshrrev_b32_e32 v5, 2, v5
	s_or_b64 s[0:1], s[2:3], s[0:1]
	v_addc_co_u32_e64 v5, s[0:1], 0, v5, s[0:1]
	v_cmp_gt_i32_e64 s[0:1], 31, v7
	v_cndmask_b32_e64 v10, v2, v5, s[0:1]
	v_cmp_ne_u32_e64 s[0:1], 0, v0
	v_cndmask_b32_e64 v0, 0, 1, s[0:1]
	v_mad_u64_u32 v[5:6], s[0:1], s8, v66, 0
	v_lshl_or_b32 v0, v0, 9, v2
	v_cmp_eq_u32_e64 s[0:1], s11, v7
	v_cndmask_b32_e64 v10, v10, v0, s[0:1]
	v_mov_b32_e32 v0, v6
	v_mad_u64_u32 v[6:7], s[0:1], s9, v66, v[0:1]
	v_lshrrev_b32_e32 v0, 16, v1
	v_mul_f16_sdwa v7, v82, v0 dst_sel:DWORD dst_unused:UNUSED_PAD src0_sel:WORD_1 src1_sel:DWORD
	v_fma_f16 v7, v82, v1, v7
	v_cvt_f32_f16_e32 v7, v7
	v_lshrrev_b32_e32 v8, 16, v8
	v_and_or_b32 v10, v8, s14, v10
	v_and_b32_e32 v9, 0xffff, v9
	v_cvt_f64_f32_e32 v[7:8], v7
	v_lshl_or_b32 v9, v10, 16, v9
	v_mov_b32_e32 v10, s7
	v_add_co_u32_e64 v3, s[0:1], s6, v3
	v_mul_f64 v[7:8], v[7:8], s[12:13]
	v_lshlrev_b64 v[5:6], 2, v[5:6]
	v_addc_co_u32_e64 v4, s[0:1], v10, v4, s[0:1]
	v_add_co_u32_e64 v5, s[0:1], v3, v5
	v_addc_co_u32_e64 v6, s[0:1], v4, v6, s[0:1]
	v_and_or_b32 v7, v8, s15, v7
	v_mul_f16_sdwa v1, v82, v1 dst_sel:DWORD dst_unused:UNUSED_PAD src0_sel:WORD_1 src1_sel:DWORD
	v_cmp_ne_u32_e64 s[0:1], 0, v7
	v_fma_f16 v0, v82, v0, -v1
	global_store_dword v[5:6], v9, off
	v_cndmask_b32_e64 v7, 0, 1, s[0:1]
	v_lshrrev_b32_e32 v9, 8, v8
	v_bfe_u32 v10, v8, 20, 11
	v_cvt_f32_f16_e32 v0, v0
	v_and_or_b32 v7, v9, s10, v7
	v_sub_u32_e32 v11, 0x3f1, v10
	v_or_b32_e32 v9, 0x1000, v7
	v_med3_i32 v11, v11, 0, 13
	v_lshrrev_b32_e32 v14, v11, v9
	v_lshlrev_b32_e32 v11, v11, v14
	v_cvt_f64_f32_e32 v[0:1], v0
	v_cmp_ne_u32_e64 s[0:1], v11, v9
	v_cndmask_b32_e64 v9, 0, 1, s[0:1]
	v_add_u32_e32 v10, 0xfffffc10, v10
	v_or_b32_e32 v9, v14, v9
	v_lshl_or_b32 v11, v10, 12, v7
	v_cmp_gt_i32_e64 s[0:1], 1, v10
	v_cndmask_b32_e64 v9, v11, v9, s[0:1]
	v_mul_f64 v[0:1], v[0:1], s[12:13]
	v_and_b32_e32 v11, 7, v9
	v_cmp_lt_i32_e64 s[0:1], 5, v11
	v_cmp_eq_u32_e64 s[2:3], 3, v11
	v_lshrrev_b32_e32 v9, 2, v9
	s_or_b64 s[0:1], s[2:3], s[0:1]
	v_addc_co_u32_e64 v9, s[0:1], 0, v9, s[0:1]
	v_cmp_gt_i32_e64 s[0:1], 31, v10
	v_cndmask_b32_e64 v9, v2, v9, s[0:1]
	v_cmp_ne_u32_e64 s[0:1], 0, v7
	v_cndmask_b32_e64 v7, 0, 1, s[0:1]
	v_lshl_or_b32 v7, v7, 9, v2
	v_cmp_eq_u32_e64 s[0:1], s11, v10
	v_and_or_b32 v0, v1, s15, v0
	v_cndmask_b32_e64 v7, v9, v7, s[0:1]
	v_lshrrev_b32_e32 v8, 16, v8
	v_cmp_ne_u32_e64 s[0:1], 0, v0
	v_and_or_b32 v9, v8, s14, v7
	v_cndmask_b32_e64 v0, 0, 1, s[0:1]
	v_lshrrev_b32_e32 v7, 8, v1
	v_bfe_u32 v8, v1, 20, 11
	v_and_or_b32 v0, v7, s10, v0
	v_sub_u32_e32 v10, 0x3f1, v8
	v_or_b32_e32 v7, 0x1000, v0
	v_med3_i32 v10, v10, 0, 13
	v_lshrrev_b32_e32 v11, v10, v7
	v_lshlrev_b32_e32 v10, v10, v11
	v_cmp_ne_u32_e64 s[0:1], v10, v7
	v_cndmask_b32_e64 v7, 0, 1, s[0:1]
	v_add_u32_e32 v10, 0xfffffc10, v8
	v_or_b32_e32 v7, v11, v7
	v_lshl_or_b32 v8, v10, 12, v0
	v_cmp_gt_i32_e64 s[0:1], 1, v10
	v_cndmask_b32_e64 v7, v8, v7, s[0:1]
	v_and_b32_e32 v8, 7, v7
	v_cmp_lt_i32_e64 s[0:1], 5, v8
	v_cmp_eq_u32_e64 s[2:3], 3, v8
	v_lshrrev_b32_e32 v7, 2, v7
	s_or_b64 s[0:1], s[2:3], s[0:1]
	v_addc_co_u32_e64 v7, s[0:1], 0, v7, s[0:1]
	v_cmp_gt_i32_e64 s[0:1], 31, v10
	v_cndmask_b32_e64 v11, v2, v7, s[0:1]
	ds_read2_b32 v[7:8], v65 offset0:42 offset1:63
	v_cmp_ne_u32_e64 s[0:1], 0, v0
	v_cndmask_b32_e64 v0, 0, 1, s[0:1]
	v_lshl_or_b32 v0, v0, 9, v2
	v_cmp_eq_u32_e64 s[0:1], s11, v10
	v_cndmask_b32_e64 v0, v11, v0, s[0:1]
	v_lshrrev_b32_e32 v1, 16, v1
	s_waitcnt lgkmcnt(0)
	v_lshrrev_b32_e32 v11, 16, v7
	v_and_or_b32 v10, v1, s14, v0
	v_mul_f16_sdwa v0, v81, v11 dst_sel:DWORD dst_unused:UNUSED_PAD src0_sel:WORD_1 src1_sel:DWORD
	v_fma_f16 v0, v81, v7, v0
	v_cvt_f32_f16_e32 v0, v0
	v_and_b32_e32 v9, 0xffff, v9
	v_lshl_or_b32 v14, v10, 16, v9
	s_mul_i32 s0, s9, 21
	v_cvt_f64_f32_e32 v[0:1], v0
	s_mul_hi_u32 s1, s8, 21
	s_add_i32 s1, s1, s0
	s_mul_i32 s0, s8, 21
	v_mul_f64 v[9:10], v[0:1], s[12:13]
	s_lshl_b64 s[6:7], s[0:1], 2
	v_mov_b32_e32 v1, s7
	v_add_co_u32_e64 v5, s[0:1], s6, v5
	v_addc_co_u32_e64 v6, s[0:1], v6, v1, s[0:1]
	global_store_dword v[5:6], v14, off
	v_and_or_b32 v0, v10, s15, v9
	v_cmp_ne_u32_e64 s[0:1], 0, v0
	v_cndmask_b32_e64 v0, 0, 1, s[0:1]
	v_lshrrev_b32_e32 v9, 8, v10
	v_bfe_u32 v14, v10, 20, 11
	v_and_or_b32 v0, v9, s10, v0
	v_sub_u32_e32 v16, 0x3f1, v14
	v_or_b32_e32 v9, 0x1000, v0
	v_med3_i32 v16, v16, 0, 13
	v_lshrrev_b32_e32 v17, v16, v9
	v_lshlrev_b32_e32 v16, v16, v17
	v_mul_f16_sdwa v7, v81, v7 dst_sel:DWORD dst_unused:UNUSED_PAD src0_sel:WORD_1 src1_sel:DWORD
	v_cmp_ne_u32_e64 s[0:1], v16, v9
	v_fma_f16 v7, v81, v11, -v7
	v_cndmask_b32_e64 v9, 0, 1, s[0:1]
	v_add_u32_e32 v14, 0xfffffc10, v14
	v_cvt_f32_f16_e32 v7, v7
	v_or_b32_e32 v9, v17, v9
	v_lshl_or_b32 v16, v14, 12, v0
	v_cmp_gt_i32_e64 s[0:1], 1, v14
	v_cndmask_b32_e64 v9, v16, v9, s[0:1]
	v_and_b32_e32 v16, 7, v9
	v_cmp_lt_i32_e64 s[0:1], 5, v16
	v_cmp_eq_u32_e64 s[2:3], 3, v16
	v_cvt_f64_f32_e32 v[16:17], v7
	v_lshrrev_b32_e32 v9, 2, v9
	s_or_b64 s[0:1], s[2:3], s[0:1]
	v_addc_co_u32_e64 v7, s[0:1], 0, v9, s[0:1]
	v_mul_f64 v[16:17], v[16:17], s[12:13]
	v_cmp_gt_i32_e64 s[0:1], 31, v14
	v_cndmask_b32_e64 v7, v2, v7, s[0:1]
	v_cmp_ne_u32_e64 s[0:1], 0, v0
	v_cndmask_b32_e64 v0, 0, 1, s[0:1]
	v_lshl_or_b32 v0, v0, 9, v2
	v_cmp_eq_u32_e64 s[0:1], s11, v14
	v_cndmask_b32_e64 v0, v7, v0, s[0:1]
	v_lshrrev_b32_e32 v7, 16, v10
	v_and_or_b32 v0, v7, s14, v0
	v_and_or_b32 v7, v17, s15, v16
	v_cmp_ne_u32_e64 s[0:1], 0, v7
	v_cndmask_b32_e64 v7, 0, 1, s[0:1]
	v_lshrrev_b32_e32 v9, 8, v17
	v_bfe_u32 v10, v17, 20, 11
	v_and_or_b32 v7, v9, s10, v7
	v_sub_u32_e32 v11, 0x3f1, v10
	v_or_b32_e32 v9, 0x1000, v7
	v_med3_i32 v11, v11, 0, 13
	v_lshrrev_b32_e32 v14, v11, v9
	v_lshlrev_b32_e32 v11, v11, v14
	v_cmp_ne_u32_e64 s[0:1], v11, v9
	v_cndmask_b32_e64 v9, 0, 1, s[0:1]
	v_add_u32_e32 v11, 0xfffffc10, v10
	v_or_b32_e32 v9, v14, v9
	v_lshl_or_b32 v10, v11, 12, v7
	v_cmp_gt_i32_e64 s[0:1], 1, v11
	v_cndmask_b32_e64 v9, v10, v9, s[0:1]
	v_and_b32_e32 v10, 7, v9
	v_cmp_lt_i32_e64 s[0:1], 5, v10
	v_cmp_eq_u32_e64 s[2:3], 3, v10
	v_lshrrev_b32_e32 v9, 2, v9
	s_or_b64 s[0:1], s[2:3], s[0:1]
	v_addc_co_u32_e64 v9, s[0:1], 0, v9, s[0:1]
	v_cmp_gt_i32_e64 s[0:1], 31, v11
	v_lshrrev_b32_e32 v16, 16, v8
	v_cndmask_b32_e64 v14, v2, v9, s[0:1]
	v_mul_f16_sdwa v9, v80, v16 dst_sel:DWORD dst_unused:UNUSED_PAD src0_sel:WORD_1 src1_sel:DWORD
	v_fma_f16 v9, v80, v8, v9
	v_cvt_f32_f16_e32 v9, v9
	v_cmp_ne_u32_e64 s[0:1], 0, v7
	v_cndmask_b32_e64 v7, 0, 1, s[0:1]
	v_lshl_or_b32 v7, v7, 9, v2
	v_cvt_f64_f32_e32 v[9:10], v9
	v_cmp_eq_u32_e64 s[0:1], s11, v11
	v_cndmask_b32_e64 v7, v14, v7, s[0:1]
	v_lshrrev_b32_e32 v11, 16, v17
	v_mul_f64 v[9:10], v[9:10], s[12:13]
	v_and_or_b32 v7, v11, s14, v7
	v_and_b32_e32 v0, 0xffff, v0
	v_add_co_u32_e64 v5, s[0:1], s6, v5
	v_lshl_or_b32 v0, v7, 16, v0
	v_addc_co_u32_e64 v6, s[0:1], v6, v1, s[0:1]
	global_store_dword v[5:6], v0, off
	v_and_or_b32 v0, v10, s15, v9
	v_cmp_ne_u32_e64 s[0:1], 0, v0
	v_cndmask_b32_e64 v0, 0, 1, s[0:1]
	v_lshrrev_b32_e32 v7, 8, v10
	v_bfe_u32 v9, v10, 20, 11
	v_and_or_b32 v0, v7, s10, v0
	v_sub_u32_e32 v11, 0x3f1, v9
	v_or_b32_e32 v7, 0x1000, v0
	v_med3_i32 v11, v11, 0, 13
	v_lshrrev_b32_e32 v14, v11, v7
	v_lshlrev_b32_e32 v11, v11, v14
	v_mul_f16_sdwa v8, v80, v8 dst_sel:DWORD dst_unused:UNUSED_PAD src0_sel:WORD_1 src1_sel:DWORD
	v_cmp_ne_u32_e64 s[0:1], v11, v7
	v_fma_f16 v8, v80, v16, -v8
	v_cndmask_b32_e64 v7, 0, 1, s[0:1]
	v_add_u32_e32 v9, 0xfffffc10, v9
	v_cvt_f32_f16_e32 v8, v8
	v_or_b32_e32 v7, v14, v7
	v_lshl_or_b32 v11, v9, 12, v0
	v_cmp_gt_i32_e64 s[0:1], 1, v9
	v_cndmask_b32_e64 v7, v11, v7, s[0:1]
	v_and_b32_e32 v11, 7, v7
	v_cmp_lt_i32_e64 s[0:1], 5, v11
	v_cmp_eq_u32_e64 s[2:3], 3, v11
	v_lshrrev_b32_e32 v11, 2, v7
	v_cvt_f64_f32_e32 v[7:8], v8
	s_or_b64 s[0:1], s[2:3], s[0:1]
	v_addc_co_u32_e64 v11, s[0:1], 0, v11, s[0:1]
	v_mul_f64 v[7:8], v[7:8], s[12:13]
	v_cmp_gt_i32_e64 s[0:1], 31, v9
	v_cndmask_b32_e64 v11, v2, v11, s[0:1]
	v_cmp_ne_u32_e64 s[0:1], 0, v0
	v_cndmask_b32_e64 v0, 0, 1, s[0:1]
	v_lshl_or_b32 v0, v0, 9, v2
	v_cmp_eq_u32_e64 s[0:1], s11, v9
	v_cndmask_b32_e64 v0, v11, v0, s[0:1]
	v_and_or_b32 v7, v8, s15, v7
	v_lshrrev_b32_e32 v9, 16, v10
	v_cmp_ne_u32_e64 s[0:1], 0, v7
	v_and_or_b32 v0, v9, s14, v0
	v_cndmask_b32_e64 v7, 0, 1, s[0:1]
	v_lshrrev_b32_e32 v9, 8, v8
	v_bfe_u32 v10, v8, 20, 11
	v_and_or_b32 v7, v9, s10, v7
	v_sub_u32_e32 v11, 0x3f1, v10
	v_or_b32_e32 v9, 0x1000, v7
	v_med3_i32 v11, v11, 0, 13
	v_lshrrev_b32_e32 v14, v11, v9
	v_lshlrev_b32_e32 v11, v11, v14
	v_cmp_ne_u32_e64 s[0:1], v11, v9
	v_cndmask_b32_e64 v9, 0, 1, s[0:1]
	v_add_u32_e32 v11, 0xfffffc10, v10
	v_or_b32_e32 v9, v14, v9
	v_lshl_or_b32 v10, v11, 12, v7
	v_cmp_gt_i32_e64 s[0:1], 1, v11
	v_cndmask_b32_e64 v9, v10, v9, s[0:1]
	v_and_b32_e32 v10, 7, v9
	v_cmp_lt_i32_e64 s[0:1], 5, v10
	v_cmp_eq_u32_e64 s[2:3], 3, v10
	v_lshrrev_b32_e32 v14, 2, v9
	ds_read2_b32 v[9:10], v65 offset0:84 offset1:105
	s_or_b64 s[0:1], s[2:3], s[0:1]
	v_addc_co_u32_e64 v14, s[0:1], 0, v14, s[0:1]
	v_cmp_gt_i32_e64 s[0:1], 31, v11
	s_waitcnt lgkmcnt(0)
	v_lshrrev_b32_e32 v18, 16, v9
	v_mul_f16_sdwa v16, v79, v18 dst_sel:DWORD dst_unused:UNUSED_PAD src0_sel:WORD_1 src1_sel:DWORD
	v_fma_f16 v16, v79, v9, v16
	v_cvt_f32_f16_e32 v16, v16
	v_cndmask_b32_e64 v14, v2, v14, s[0:1]
	v_cmp_ne_u32_e64 s[0:1], 0, v7
	v_cndmask_b32_e64 v7, 0, 1, s[0:1]
	v_cvt_f64_f32_e32 v[16:17], v16
	v_lshl_or_b32 v7, v7, 9, v2
	v_cmp_eq_u32_e64 s[0:1], s11, v11
	v_cndmask_b32_e64 v7, v14, v7, s[0:1]
	v_lshrrev_b32_e32 v8, 16, v8
	v_and_or_b32 v11, v8, s14, v7
	v_mul_f64 v[7:8], v[16:17], s[12:13]
	v_and_b32_e32 v0, 0xffff, v0
	v_add_co_u32_e64 v5, s[0:1], s6, v5
	v_lshl_or_b32 v0, v11, 16, v0
	v_addc_co_u32_e64 v6, s[0:1], v6, v1, s[0:1]
	global_store_dword v[5:6], v0, off
	v_and_or_b32 v0, v8, s15, v7
	v_cmp_ne_u32_e64 s[0:1], 0, v0
	v_cndmask_b32_e64 v0, 0, 1, s[0:1]
	v_lshrrev_b32_e32 v7, 8, v8
	v_bfe_u32 v11, v8, 20, 11
	v_and_or_b32 v0, v7, s10, v0
	v_sub_u32_e32 v14, 0x3f1, v11
	v_mul_f16_sdwa v9, v79, v9 dst_sel:DWORD dst_unused:UNUSED_PAD src0_sel:WORD_1 src1_sel:DWORD
	v_or_b32_e32 v7, 0x1000, v0
	v_med3_i32 v14, v14, 0, 13
	v_fma_f16 v9, v79, v18, -v9
	v_lshrrev_b32_e32 v16, v14, v7
	v_cvt_f32_f16_e32 v9, v9
	v_lshlrev_b32_e32 v14, v14, v16
	v_cmp_ne_u32_e64 s[0:1], v14, v7
	v_cndmask_b32_e64 v7, 0, 1, s[0:1]
	v_or_b32_e32 v7, v16, v7
	v_add_u32_e32 v11, 0xfffffc10, v11
	v_cvt_f64_f32_e32 v[16:17], v9
	v_lshl_or_b32 v14, v11, 12, v0
	v_cmp_gt_i32_e64 s[0:1], 1, v11
	v_cndmask_b32_e64 v7, v14, v7, s[0:1]
	v_and_b32_e32 v14, 7, v7
	v_cmp_lt_i32_e64 s[0:1], 5, v14
	v_cmp_eq_u32_e64 s[2:3], 3, v14
	v_mul_f64 v[16:17], v[16:17], s[12:13]
	v_lshrrev_b32_e32 v7, 2, v7
	s_or_b64 s[0:1], s[2:3], s[0:1]
	v_addc_co_u32_e64 v7, s[0:1], 0, v7, s[0:1]
	v_cmp_gt_i32_e64 s[0:1], 31, v11
	v_cndmask_b32_e64 v7, v2, v7, s[0:1]
	v_cmp_ne_u32_e64 s[0:1], 0, v0
	v_cndmask_b32_e64 v0, 0, 1, s[0:1]
	v_lshl_or_b32 v0, v0, 9, v2
	v_cmp_eq_u32_e64 s[0:1], s11, v11
	v_cndmask_b32_e64 v0, v7, v0, s[0:1]
	v_lshrrev_b32_e32 v7, 16, v8
	v_and_or_b32 v0, v7, s14, v0
	v_and_or_b32 v7, v17, s15, v16
	v_cmp_ne_u32_e64 s[0:1], 0, v7
	v_cndmask_b32_e64 v7, 0, 1, s[0:1]
	v_lshrrev_b32_e32 v8, 8, v17
	v_bfe_u32 v9, v17, 20, 11
	v_and_or_b32 v7, v8, s10, v7
	v_sub_u32_e32 v11, 0x3f1, v9
	v_or_b32_e32 v8, 0x1000, v7
	v_med3_i32 v11, v11, 0, 13
	v_lshrrev_b32_e32 v14, v11, v8
	v_lshlrev_b32_e32 v11, v11, v14
	v_cmp_ne_u32_e64 s[0:1], v11, v8
	v_cndmask_b32_e64 v8, 0, 1, s[0:1]
	v_add_u32_e32 v9, 0xfffffc10, v9
	v_or_b32_e32 v8, v14, v8
	v_lshl_or_b32 v11, v9, 12, v7
	v_cmp_gt_i32_e64 s[0:1], 1, v9
	v_cndmask_b32_e64 v8, v11, v8, s[0:1]
	v_and_b32_e32 v11, 7, v8
	v_cmp_lt_i32_e64 s[0:1], 5, v11
	v_cmp_eq_u32_e64 s[2:3], 3, v11
	v_lshrrev_b32_e32 v8, 2, v8
	s_or_b64 s[0:1], s[2:3], s[0:1]
	v_addc_co_u32_e64 v8, s[0:1], 0, v8, s[0:1]
	v_cmp_gt_i32_e64 s[0:1], 31, v9
	v_lshrrev_b32_e32 v14, 16, v10
	v_cndmask_b32_e64 v11, v2, v8, s[0:1]
	v_mul_f16_sdwa v8, v78, v14 dst_sel:DWORD dst_unused:UNUSED_PAD src0_sel:WORD_1 src1_sel:DWORD
	v_fma_f16 v8, v78, v10, v8
	v_cvt_f32_f16_e32 v8, v8
	v_cmp_ne_u32_e64 s[0:1], 0, v7
	v_cndmask_b32_e64 v7, 0, 1, s[0:1]
	v_lshl_or_b32 v16, v7, 9, v2
	v_cvt_f64_f32_e32 v[7:8], v8
	v_cmp_eq_u32_e64 s[0:1], s11, v9
	v_cndmask_b32_e64 v9, v11, v16, s[0:1]
	v_lshrrev_b32_e32 v11, 16, v17
	v_mul_f64 v[7:8], v[7:8], s[12:13]
	v_and_or_b32 v9, v11, s14, v9
	v_and_b32_e32 v0, 0xffff, v0
	v_add_co_u32_e64 v5, s[0:1], s6, v5
	v_lshl_or_b32 v0, v9, 16, v0
	v_addc_co_u32_e64 v6, s[0:1], v6, v1, s[0:1]
	global_store_dword v[5:6], v0, off
	v_and_or_b32 v0, v8, s15, v7
	v_cmp_ne_u32_e64 s[0:1], 0, v0
	v_cndmask_b32_e64 v0, 0, 1, s[0:1]
	v_lshrrev_b32_e32 v7, 8, v8
	v_bfe_u32 v9, v8, 20, 11
	v_and_or_b32 v0, v7, s10, v0
	v_sub_u32_e32 v11, 0x3f1, v9
	v_or_b32_e32 v7, 0x1000, v0
	v_med3_i32 v11, v11, 0, 13
	v_lshrrev_b32_e32 v16, v11, v7
	v_lshlrev_b32_e32 v11, v11, v16
	v_mul_f16_sdwa v10, v78, v10 dst_sel:DWORD dst_unused:UNUSED_PAD src0_sel:WORD_1 src1_sel:DWORD
	v_cmp_ne_u32_e64 s[0:1], v11, v7
	v_fma_f16 v10, v78, v14, -v10
	v_cndmask_b32_e64 v7, 0, 1, s[0:1]
	v_add_u32_e32 v11, 0xfffffc10, v9
	v_cvt_f32_f16_e32 v10, v10
	v_or_b32_e32 v7, v16, v7
	v_lshl_or_b32 v9, v11, 12, v0
	v_cmp_gt_i32_e64 s[0:1], 1, v11
	v_cndmask_b32_e64 v7, v9, v7, s[0:1]
	v_and_b32_e32 v9, 7, v7
	v_cmp_lt_i32_e64 s[0:1], 5, v9
	v_cmp_eq_u32_e64 s[2:3], 3, v9
	v_cvt_f64_f32_e32 v[9:10], v10
	v_lshrrev_b32_e32 v7, 2, v7
	s_or_b64 s[0:1], s[2:3], s[0:1]
	v_addc_co_u32_e64 v7, s[0:1], 0, v7, s[0:1]
	v_mul_f64 v[9:10], v[9:10], s[12:13]
	v_cmp_gt_i32_e64 s[0:1], 31, v11
	v_cndmask_b32_e64 v7, v2, v7, s[0:1]
	v_cmp_ne_u32_e64 s[0:1], 0, v0
	v_cndmask_b32_e64 v0, 0, 1, s[0:1]
	v_lshl_or_b32 v0, v0, 9, v2
	v_cmp_eq_u32_e64 s[0:1], s11, v11
	v_cndmask_b32_e64 v0, v7, v0, s[0:1]
	v_lshrrev_b32_e32 v7, 16, v8
	v_and_or_b32 v0, v7, s14, v0
	v_and_or_b32 v7, v10, s15, v9
	v_cmp_ne_u32_e64 s[0:1], 0, v7
	v_cndmask_b32_e64 v7, 0, 1, s[0:1]
	v_lshrrev_b32_e32 v8, 8, v10
	v_and_or_b32 v9, v8, s10, v7
	v_bfe_u32 v8, v10, 20, 11
	v_sub_u32_e32 v11, 0x3f1, v8
	v_or_b32_e32 v7, 0x1000, v9
	v_med3_i32 v11, v11, 0, 13
	v_lshrrev_b32_e32 v14, v11, v7
	v_lshlrev_b32_e32 v11, v11, v14
	v_cmp_ne_u32_e64 s[0:1], v11, v7
	v_cndmask_b32_e64 v7, 0, 1, s[0:1]
	v_add_u32_e32 v11, 0xfffffc10, v8
	v_or_b32_e32 v7, v14, v7
	v_lshl_or_b32 v8, v11, 12, v9
	v_cmp_gt_i32_e64 s[0:1], 1, v11
	v_cndmask_b32_e64 v7, v8, v7, s[0:1]
	v_and_b32_e32 v8, 7, v7
	v_cmp_lt_i32_e64 s[0:1], 5, v8
	v_cmp_eq_u32_e64 s[2:3], 3, v8
	v_lshrrev_b32_e32 v14, 2, v7
	ds_read2_b32 v[7:8], v65 offset0:126 offset1:147
	s_or_b64 s[0:1], s[2:3], s[0:1]
	v_addc_co_u32_e64 v14, s[0:1], 0, v14, s[0:1]
	v_cmp_gt_i32_e64 s[0:1], 31, v11
	s_waitcnt lgkmcnt(0)
	v_lshrrev_b32_e32 v18, 16, v7
	v_mul_f16_sdwa v16, v77, v18 dst_sel:DWORD dst_unused:UNUSED_PAD src0_sel:WORD_1 src1_sel:DWORD
	v_fma_f16 v16, v77, v7, v16
	v_cvt_f32_f16_e32 v16, v16
	v_cndmask_b32_e64 v14, v2, v14, s[0:1]
	v_cmp_ne_u32_e64 s[0:1], 0, v9
	v_cndmask_b32_e64 v9, 0, 1, s[0:1]
	v_cvt_f64_f32_e32 v[16:17], v16
	v_lshl_or_b32 v9, v9, 9, v2
	v_cmp_eq_u32_e64 s[0:1], s11, v11
	v_cndmask_b32_e64 v9, v14, v9, s[0:1]
	v_lshrrev_b32_e32 v10, 16, v10
	v_and_or_b32 v11, v10, s14, v9
	v_mul_f64 v[9:10], v[16:17], s[12:13]
	v_and_b32_e32 v0, 0xffff, v0
	v_add_co_u32_e64 v5, s[0:1], s6, v5
	v_lshl_or_b32 v0, v11, 16, v0
	v_addc_co_u32_e64 v6, s[0:1], v6, v1, s[0:1]
	global_store_dword v[5:6], v0, off
	v_and_or_b32 v0, v10, s15, v9
	v_cmp_ne_u32_e64 s[0:1], 0, v0
	v_cndmask_b32_e64 v0, 0, 1, s[0:1]
	v_lshrrev_b32_e32 v9, 8, v10
	v_bfe_u32 v11, v10, 20, 11
	v_and_or_b32 v0, v9, s10, v0
	v_sub_u32_e32 v14, 0x3f1, v11
	v_mul_f16_sdwa v7, v77, v7 dst_sel:DWORD dst_unused:UNUSED_PAD src0_sel:WORD_1 src1_sel:DWORD
	v_or_b32_e32 v9, 0x1000, v0
	v_med3_i32 v14, v14, 0, 13
	v_fma_f16 v7, v77, v18, -v7
	v_lshrrev_b32_e32 v16, v14, v9
	v_cvt_f32_f16_e32 v7, v7
	v_lshlrev_b32_e32 v14, v14, v16
	v_cmp_ne_u32_e64 s[0:1], v14, v9
	v_cndmask_b32_e64 v9, 0, 1, s[0:1]
	v_or_b32_e32 v9, v16, v9
	v_add_u32_e32 v11, 0xfffffc10, v11
	v_cvt_f64_f32_e32 v[16:17], v7
	v_lshl_or_b32 v14, v11, 12, v0
	v_cmp_gt_i32_e64 s[0:1], 1, v11
	v_cndmask_b32_e64 v9, v14, v9, s[0:1]
	v_and_b32_e32 v14, 7, v9
	v_cmp_lt_i32_e64 s[0:1], 5, v14
	v_cmp_eq_u32_e64 s[2:3], 3, v14
	v_mul_f64 v[16:17], v[16:17], s[12:13]
	v_lshrrev_b32_e32 v9, 2, v9
	s_or_b64 s[0:1], s[2:3], s[0:1]
	v_addc_co_u32_e64 v7, s[0:1], 0, v9, s[0:1]
	v_cmp_gt_i32_e64 s[0:1], 31, v11
	v_cndmask_b32_e64 v7, v2, v7, s[0:1]
	v_cmp_ne_u32_e64 s[0:1], 0, v0
	v_cndmask_b32_e64 v0, 0, 1, s[0:1]
	v_lshl_or_b32 v0, v0, 9, v2
	v_cmp_eq_u32_e64 s[0:1], s11, v11
	v_cndmask_b32_e64 v0, v7, v0, s[0:1]
	v_lshrrev_b32_e32 v7, 16, v10
	v_and_or_b32 v0, v7, s14, v0
	v_and_or_b32 v7, v17, s15, v16
	v_cmp_ne_u32_e64 s[0:1], 0, v7
	v_cndmask_b32_e64 v7, 0, 1, s[0:1]
	v_lshrrev_b32_e32 v9, 8, v17
	v_bfe_u32 v10, v17, 20, 11
	v_and_or_b32 v7, v9, s10, v7
	v_sub_u32_e32 v11, 0x3f1, v10
	v_or_b32_e32 v9, 0x1000, v7
	v_med3_i32 v11, v11, 0, 13
	v_lshrrev_b32_e32 v14, v11, v9
	v_lshlrev_b32_e32 v11, v11, v14
	v_cmp_ne_u32_e64 s[0:1], v11, v9
	v_cndmask_b32_e64 v9, 0, 1, s[0:1]
	v_add_u32_e32 v11, 0xfffffc10, v10
	v_or_b32_e32 v9, v14, v9
	v_lshl_or_b32 v10, v11, 12, v7
	v_cmp_gt_i32_e64 s[0:1], 1, v11
	v_cndmask_b32_e64 v9, v10, v9, s[0:1]
	v_and_b32_e32 v10, 7, v9
	v_cmp_lt_i32_e64 s[0:1], 5, v10
	v_cmp_eq_u32_e64 s[2:3], 3, v10
	v_lshrrev_b32_e32 v9, 2, v9
	s_or_b64 s[0:1], s[2:3], s[0:1]
	v_addc_co_u32_e64 v9, s[0:1], 0, v9, s[0:1]
	v_cmp_gt_i32_e64 s[0:1], 31, v11
	v_lshrrev_b32_e32 v16, 16, v8
	v_cndmask_b32_e64 v14, v2, v9, s[0:1]
	v_mul_f16_sdwa v9, v76, v16 dst_sel:DWORD dst_unused:UNUSED_PAD src0_sel:WORD_1 src1_sel:DWORD
	v_fma_f16 v9, v76, v8, v9
	v_cvt_f32_f16_e32 v9, v9
	v_cmp_ne_u32_e64 s[0:1], 0, v7
	v_cndmask_b32_e64 v7, 0, 1, s[0:1]
	v_lshl_or_b32 v7, v7, 9, v2
	v_cvt_f64_f32_e32 v[9:10], v9
	v_cmp_eq_u32_e64 s[0:1], s11, v11
	v_cndmask_b32_e64 v7, v14, v7, s[0:1]
	v_lshrrev_b32_e32 v11, 16, v17
	v_mul_f64 v[9:10], v[9:10], s[12:13]
	v_and_or_b32 v7, v11, s14, v7
	v_and_b32_e32 v0, 0xffff, v0
	v_add_co_u32_e64 v5, s[0:1], s6, v5
	v_lshl_or_b32 v0, v7, 16, v0
	v_addc_co_u32_e64 v6, s[0:1], v6, v1, s[0:1]
	global_store_dword v[5:6], v0, off
	v_and_or_b32 v0, v10, s15, v9
	v_cmp_ne_u32_e64 s[0:1], 0, v0
	v_cndmask_b32_e64 v0, 0, 1, s[0:1]
	v_lshrrev_b32_e32 v7, 8, v10
	v_bfe_u32 v9, v10, 20, 11
	v_and_or_b32 v0, v7, s10, v0
	v_sub_u32_e32 v11, 0x3f1, v9
	v_or_b32_e32 v7, 0x1000, v0
	v_med3_i32 v11, v11, 0, 13
	v_lshrrev_b32_e32 v14, v11, v7
	v_lshlrev_b32_e32 v11, v11, v14
	v_mul_f16_sdwa v8, v76, v8 dst_sel:DWORD dst_unused:UNUSED_PAD src0_sel:WORD_1 src1_sel:DWORD
	v_cmp_ne_u32_e64 s[0:1], v11, v7
	v_fma_f16 v8, v76, v16, -v8
	v_cndmask_b32_e64 v7, 0, 1, s[0:1]
	v_add_u32_e32 v9, 0xfffffc10, v9
	v_cvt_f32_f16_e32 v8, v8
	v_or_b32_e32 v7, v14, v7
	v_lshl_or_b32 v11, v9, 12, v0
	v_cmp_gt_i32_e64 s[0:1], 1, v9
	v_cndmask_b32_e64 v7, v11, v7, s[0:1]
	v_and_b32_e32 v11, 7, v7
	v_cmp_lt_i32_e64 s[0:1], 5, v11
	v_cmp_eq_u32_e64 s[2:3], 3, v11
	v_lshrrev_b32_e32 v11, 2, v7
	v_cvt_f64_f32_e32 v[7:8], v8
	s_or_b64 s[0:1], s[2:3], s[0:1]
	v_addc_co_u32_e64 v11, s[0:1], 0, v11, s[0:1]
	v_mul_f64 v[7:8], v[7:8], s[12:13]
	v_cmp_gt_i32_e64 s[0:1], 31, v9
	v_cndmask_b32_e64 v11, v2, v11, s[0:1]
	v_cmp_ne_u32_e64 s[0:1], 0, v0
	v_cndmask_b32_e64 v0, 0, 1, s[0:1]
	v_lshl_or_b32 v0, v0, 9, v2
	v_cmp_eq_u32_e64 s[0:1], s11, v9
	v_cndmask_b32_e64 v0, v11, v0, s[0:1]
	v_and_or_b32 v7, v8, s15, v7
	v_lshrrev_b32_e32 v9, 16, v10
	v_cmp_ne_u32_e64 s[0:1], 0, v7
	v_and_or_b32 v0, v9, s14, v0
	v_cndmask_b32_e64 v7, 0, 1, s[0:1]
	v_lshrrev_b32_e32 v9, 8, v8
	v_bfe_u32 v10, v8, 20, 11
	v_and_or_b32 v7, v9, s10, v7
	v_sub_u32_e32 v11, 0x3f1, v10
	v_or_b32_e32 v9, 0x1000, v7
	v_med3_i32 v11, v11, 0, 13
	v_lshrrev_b32_e32 v14, v11, v9
	v_lshlrev_b32_e32 v11, v11, v14
	v_cmp_ne_u32_e64 s[0:1], v11, v9
	v_cndmask_b32_e64 v9, 0, 1, s[0:1]
	v_add_u32_e32 v11, 0xfffffc10, v10
	v_or_b32_e32 v9, v14, v9
	v_lshl_or_b32 v10, v11, 12, v7
	v_cmp_gt_i32_e64 s[0:1], 1, v11
	v_cndmask_b32_e64 v9, v10, v9, s[0:1]
	v_and_b32_e32 v10, 7, v9
	v_cmp_lt_i32_e64 s[0:1], 5, v10
	v_cmp_eq_u32_e64 s[2:3], 3, v10
	v_lshrrev_b32_e32 v14, 2, v9
	ds_read2_b32 v[9:10], v65 offset0:168 offset1:189
	s_or_b64 s[0:1], s[2:3], s[0:1]
	v_addc_co_u32_e64 v14, s[0:1], 0, v14, s[0:1]
	v_cmp_gt_i32_e64 s[0:1], 31, v11
	s_waitcnt lgkmcnt(0)
	v_lshrrev_b32_e32 v18, 16, v9
	v_mul_f16_sdwa v16, v75, v18 dst_sel:DWORD dst_unused:UNUSED_PAD src0_sel:WORD_1 src1_sel:DWORD
	v_fma_f16 v16, v75, v9, v16
	v_cvt_f32_f16_e32 v16, v16
	v_cndmask_b32_e64 v14, v2, v14, s[0:1]
	v_cmp_ne_u32_e64 s[0:1], 0, v7
	v_cndmask_b32_e64 v7, 0, 1, s[0:1]
	v_cvt_f64_f32_e32 v[16:17], v16
	v_lshl_or_b32 v7, v7, 9, v2
	v_cmp_eq_u32_e64 s[0:1], s11, v11
	v_cndmask_b32_e64 v7, v14, v7, s[0:1]
	v_lshrrev_b32_e32 v8, 16, v8
	v_and_or_b32 v11, v8, s14, v7
	v_mul_f64 v[7:8], v[16:17], s[12:13]
	v_and_b32_e32 v0, 0xffff, v0
	v_add_co_u32_e64 v5, s[0:1], s6, v5
	v_lshl_or_b32 v0, v11, 16, v0
	v_addc_co_u32_e64 v6, s[0:1], v6, v1, s[0:1]
	global_store_dword v[5:6], v0, off
	v_and_or_b32 v0, v8, s15, v7
	v_cmp_ne_u32_e64 s[0:1], 0, v0
	v_cndmask_b32_e64 v0, 0, 1, s[0:1]
	v_lshrrev_b32_e32 v7, 8, v8
	v_bfe_u32 v11, v8, 20, 11
	v_and_or_b32 v0, v7, s10, v0
	v_sub_u32_e32 v14, 0x3f1, v11
	v_mul_f16_sdwa v9, v75, v9 dst_sel:DWORD dst_unused:UNUSED_PAD src0_sel:WORD_1 src1_sel:DWORD
	v_or_b32_e32 v7, 0x1000, v0
	v_med3_i32 v14, v14, 0, 13
	v_fma_f16 v9, v75, v18, -v9
	v_lshrrev_b32_e32 v16, v14, v7
	v_cvt_f32_f16_e32 v9, v9
	v_lshlrev_b32_e32 v14, v14, v16
	v_cmp_ne_u32_e64 s[0:1], v14, v7
	v_cndmask_b32_e64 v7, 0, 1, s[0:1]
	v_or_b32_e32 v7, v16, v7
	v_add_u32_e32 v11, 0xfffffc10, v11
	v_cvt_f64_f32_e32 v[16:17], v9
	v_lshl_or_b32 v14, v11, 12, v0
	v_cmp_gt_i32_e64 s[0:1], 1, v11
	v_cndmask_b32_e64 v7, v14, v7, s[0:1]
	v_and_b32_e32 v14, 7, v7
	v_cmp_lt_i32_e64 s[0:1], 5, v14
	v_cmp_eq_u32_e64 s[2:3], 3, v14
	v_mul_f64 v[16:17], v[16:17], s[12:13]
	v_lshrrev_b32_e32 v7, 2, v7
	s_or_b64 s[0:1], s[2:3], s[0:1]
	v_addc_co_u32_e64 v7, s[0:1], 0, v7, s[0:1]
	v_cmp_gt_i32_e64 s[0:1], 31, v11
	v_cndmask_b32_e64 v7, v2, v7, s[0:1]
	v_cmp_ne_u32_e64 s[0:1], 0, v0
	v_cndmask_b32_e64 v0, 0, 1, s[0:1]
	v_lshl_or_b32 v0, v0, 9, v2
	v_cmp_eq_u32_e64 s[0:1], s11, v11
	v_cndmask_b32_e64 v0, v7, v0, s[0:1]
	v_lshrrev_b32_e32 v7, 16, v8
	v_and_or_b32 v0, v7, s14, v0
	v_and_or_b32 v7, v17, s15, v16
	v_cmp_ne_u32_e64 s[0:1], 0, v7
	v_cndmask_b32_e64 v7, 0, 1, s[0:1]
	v_lshrrev_b32_e32 v8, 8, v17
	v_bfe_u32 v9, v17, 20, 11
	v_and_or_b32 v7, v8, s10, v7
	v_sub_u32_e32 v11, 0x3f1, v9
	v_or_b32_e32 v8, 0x1000, v7
	v_med3_i32 v11, v11, 0, 13
	v_lshrrev_b32_e32 v14, v11, v8
	v_lshlrev_b32_e32 v11, v11, v14
	v_cmp_ne_u32_e64 s[0:1], v11, v8
	v_cndmask_b32_e64 v8, 0, 1, s[0:1]
	v_add_u32_e32 v9, 0xfffffc10, v9
	v_or_b32_e32 v8, v14, v8
	v_lshl_or_b32 v11, v9, 12, v7
	v_cmp_gt_i32_e64 s[0:1], 1, v9
	v_cndmask_b32_e64 v8, v11, v8, s[0:1]
	v_and_b32_e32 v11, 7, v8
	v_cmp_lt_i32_e64 s[0:1], 5, v11
	v_cmp_eq_u32_e64 s[2:3], 3, v11
	v_lshrrev_b32_e32 v8, 2, v8
	s_or_b64 s[0:1], s[2:3], s[0:1]
	v_addc_co_u32_e64 v8, s[0:1], 0, v8, s[0:1]
	v_cmp_gt_i32_e64 s[0:1], 31, v9
	v_lshrrev_b32_e32 v14, 16, v10
	v_cndmask_b32_e64 v11, v2, v8, s[0:1]
	v_mul_f16_sdwa v8, v74, v14 dst_sel:DWORD dst_unused:UNUSED_PAD src0_sel:WORD_1 src1_sel:DWORD
	v_fma_f16 v8, v74, v10, v8
	v_cvt_f32_f16_e32 v8, v8
	v_cmp_ne_u32_e64 s[0:1], 0, v7
	v_cndmask_b32_e64 v7, 0, 1, s[0:1]
	v_lshl_or_b32 v16, v7, 9, v2
	v_cvt_f64_f32_e32 v[7:8], v8
	v_cmp_eq_u32_e64 s[0:1], s11, v9
	v_cndmask_b32_e64 v9, v11, v16, s[0:1]
	v_lshrrev_b32_e32 v11, 16, v17
	v_mul_f64 v[7:8], v[7:8], s[12:13]
	v_and_or_b32 v9, v11, s14, v9
	v_and_b32_e32 v0, 0xffff, v0
	v_add_co_u32_e64 v5, s[0:1], s6, v5
	v_lshl_or_b32 v0, v9, 16, v0
	v_addc_co_u32_e64 v6, s[0:1], v6, v1, s[0:1]
	global_store_dword v[5:6], v0, off
	v_and_or_b32 v0, v8, s15, v7
	v_cmp_ne_u32_e64 s[0:1], 0, v0
	v_cndmask_b32_e64 v0, 0, 1, s[0:1]
	v_lshrrev_b32_e32 v7, 8, v8
	v_bfe_u32 v9, v8, 20, 11
	v_and_or_b32 v0, v7, s10, v0
	v_sub_u32_e32 v11, 0x3f1, v9
	v_or_b32_e32 v7, 0x1000, v0
	v_med3_i32 v11, v11, 0, 13
	v_lshrrev_b32_e32 v16, v11, v7
	v_lshlrev_b32_e32 v11, v11, v16
	v_mul_f16_sdwa v10, v74, v10 dst_sel:DWORD dst_unused:UNUSED_PAD src0_sel:WORD_1 src1_sel:DWORD
	v_cmp_ne_u32_e64 s[0:1], v11, v7
	v_fma_f16 v10, v74, v14, -v10
	v_cndmask_b32_e64 v7, 0, 1, s[0:1]
	v_add_u32_e32 v11, 0xfffffc10, v9
	v_cvt_f32_f16_e32 v10, v10
	v_or_b32_e32 v7, v16, v7
	v_lshl_or_b32 v9, v11, 12, v0
	v_cmp_gt_i32_e64 s[0:1], 1, v11
	v_cndmask_b32_e64 v7, v9, v7, s[0:1]
	v_and_b32_e32 v9, 7, v7
	v_cmp_lt_i32_e64 s[0:1], 5, v9
	v_cmp_eq_u32_e64 s[2:3], 3, v9
	v_cvt_f64_f32_e32 v[9:10], v10
	v_lshrrev_b32_e32 v7, 2, v7
	s_or_b64 s[0:1], s[2:3], s[0:1]
	v_addc_co_u32_e64 v7, s[0:1], 0, v7, s[0:1]
	v_mul_f64 v[9:10], v[9:10], s[12:13]
	v_cmp_gt_i32_e64 s[0:1], 31, v11
	v_cndmask_b32_e64 v7, v2, v7, s[0:1]
	v_cmp_ne_u32_e64 s[0:1], 0, v0
	v_cndmask_b32_e64 v0, 0, 1, s[0:1]
	v_lshl_or_b32 v0, v0, 9, v2
	v_cmp_eq_u32_e64 s[0:1], s11, v11
	v_cndmask_b32_e64 v0, v7, v0, s[0:1]
	v_lshrrev_b32_e32 v7, 16, v8
	v_and_or_b32 v0, v7, s14, v0
	v_and_or_b32 v7, v10, s15, v9
	v_cmp_ne_u32_e64 s[0:1], 0, v7
	v_cndmask_b32_e64 v7, 0, 1, s[0:1]
	v_lshrrev_b32_e32 v8, 8, v10
	v_and_or_b32 v9, v8, s10, v7
	v_bfe_u32 v8, v10, 20, 11
	v_sub_u32_e32 v11, 0x3f1, v8
	v_or_b32_e32 v7, 0x1000, v9
	v_med3_i32 v11, v11, 0, 13
	v_lshrrev_b32_e32 v14, v11, v7
	v_lshlrev_b32_e32 v11, v11, v14
	v_cmp_ne_u32_e64 s[0:1], v11, v7
	v_cndmask_b32_e64 v7, 0, 1, s[0:1]
	v_add_u32_e32 v11, 0xfffffc10, v8
	v_or_b32_e32 v7, v14, v7
	v_lshl_or_b32 v8, v11, 12, v9
	v_cmp_gt_i32_e64 s[0:1], 1, v11
	v_cndmask_b32_e64 v7, v8, v7, s[0:1]
	v_and_b32_e32 v8, 7, v7
	v_cmp_lt_i32_e64 s[0:1], 5, v8
	v_cmp_eq_u32_e64 s[2:3], 3, v8
	v_lshrrev_b32_e32 v14, 2, v7
	ds_read2_b32 v[7:8], v65 offset0:210 offset1:231
	s_or_b64 s[0:1], s[2:3], s[0:1]
	v_addc_co_u32_e64 v14, s[0:1], 0, v14, s[0:1]
	v_cmp_gt_i32_e64 s[0:1], 31, v11
	s_waitcnt lgkmcnt(0)
	v_lshrrev_b32_e32 v18, 16, v7
	v_mul_f16_sdwa v16, v73, v18 dst_sel:DWORD dst_unused:UNUSED_PAD src0_sel:WORD_1 src1_sel:DWORD
	v_fma_f16 v16, v73, v7, v16
	v_cvt_f32_f16_e32 v16, v16
	v_cndmask_b32_e64 v14, v2, v14, s[0:1]
	v_cmp_ne_u32_e64 s[0:1], 0, v9
	v_cndmask_b32_e64 v9, 0, 1, s[0:1]
	v_cvt_f64_f32_e32 v[16:17], v16
	v_lshl_or_b32 v9, v9, 9, v2
	v_cmp_eq_u32_e64 s[0:1], s11, v11
	v_cndmask_b32_e64 v9, v14, v9, s[0:1]
	v_lshrrev_b32_e32 v10, 16, v10
	v_and_or_b32 v11, v10, s14, v9
	v_mul_f64 v[9:10], v[16:17], s[12:13]
	v_and_b32_e32 v0, 0xffff, v0
	v_add_co_u32_e64 v5, s[0:1], s6, v5
	v_lshl_or_b32 v0, v11, 16, v0
	v_addc_co_u32_e64 v6, s[0:1], v6, v1, s[0:1]
	global_store_dword v[5:6], v0, off
	v_and_or_b32 v0, v10, s15, v9
	v_cmp_ne_u32_e64 s[0:1], 0, v0
	v_cndmask_b32_e64 v0, 0, 1, s[0:1]
	v_lshrrev_b32_e32 v9, 8, v10
	v_bfe_u32 v11, v10, 20, 11
	v_and_or_b32 v0, v9, s10, v0
	v_sub_u32_e32 v14, 0x3f1, v11
	v_mul_f16_sdwa v7, v73, v7 dst_sel:DWORD dst_unused:UNUSED_PAD src0_sel:WORD_1 src1_sel:DWORD
	v_or_b32_e32 v9, 0x1000, v0
	v_med3_i32 v14, v14, 0, 13
	v_fma_f16 v7, v73, v18, -v7
	v_lshrrev_b32_e32 v16, v14, v9
	v_cvt_f32_f16_e32 v7, v7
	v_lshlrev_b32_e32 v14, v14, v16
	v_cmp_ne_u32_e64 s[0:1], v14, v9
	v_cndmask_b32_e64 v9, 0, 1, s[0:1]
	v_or_b32_e32 v9, v16, v9
	v_add_u32_e32 v11, 0xfffffc10, v11
	v_cvt_f64_f32_e32 v[16:17], v7
	v_lshl_or_b32 v14, v11, 12, v0
	v_cmp_gt_i32_e64 s[0:1], 1, v11
	v_cndmask_b32_e64 v9, v14, v9, s[0:1]
	v_and_b32_e32 v14, 7, v9
	v_cmp_lt_i32_e64 s[0:1], 5, v14
	v_cmp_eq_u32_e64 s[2:3], 3, v14
	v_mul_f64 v[16:17], v[16:17], s[12:13]
	v_lshrrev_b32_e32 v9, 2, v9
	s_or_b64 s[0:1], s[2:3], s[0:1]
	v_addc_co_u32_e64 v7, s[0:1], 0, v9, s[0:1]
	v_cmp_gt_i32_e64 s[0:1], 31, v11
	v_cndmask_b32_e64 v7, v2, v7, s[0:1]
	v_cmp_ne_u32_e64 s[0:1], 0, v0
	v_cndmask_b32_e64 v0, 0, 1, s[0:1]
	v_lshl_or_b32 v0, v0, 9, v2
	v_cmp_eq_u32_e64 s[0:1], s11, v11
	v_cndmask_b32_e64 v0, v7, v0, s[0:1]
	v_lshrrev_b32_e32 v7, 16, v10
	v_and_or_b32 v0, v7, s14, v0
	v_and_or_b32 v7, v17, s15, v16
	v_cmp_ne_u32_e64 s[0:1], 0, v7
	v_cndmask_b32_e64 v7, 0, 1, s[0:1]
	v_lshrrev_b32_e32 v9, 8, v17
	v_bfe_u32 v10, v17, 20, 11
	v_and_or_b32 v7, v9, s10, v7
	v_sub_u32_e32 v11, 0x3f1, v10
	v_or_b32_e32 v9, 0x1000, v7
	v_med3_i32 v11, v11, 0, 13
	v_lshrrev_b32_e32 v14, v11, v9
	v_lshlrev_b32_e32 v11, v11, v14
	v_cmp_ne_u32_e64 s[0:1], v11, v9
	v_cndmask_b32_e64 v9, 0, 1, s[0:1]
	v_add_u32_e32 v11, 0xfffffc10, v10
	v_or_b32_e32 v9, v14, v9
	v_lshl_or_b32 v10, v11, 12, v7
	v_cmp_gt_i32_e64 s[0:1], 1, v11
	v_cndmask_b32_e64 v9, v10, v9, s[0:1]
	v_and_b32_e32 v10, 7, v9
	v_cmp_lt_i32_e64 s[0:1], 5, v10
	v_cmp_eq_u32_e64 s[2:3], 3, v10
	v_lshrrev_b32_e32 v9, 2, v9
	s_or_b64 s[0:1], s[2:3], s[0:1]
	v_addc_co_u32_e64 v9, s[0:1], 0, v9, s[0:1]
	v_cmp_gt_i32_e64 s[0:1], 31, v11
	v_lshrrev_b32_e32 v16, 16, v8
	v_cndmask_b32_e64 v14, v2, v9, s[0:1]
	v_mul_f16_sdwa v9, v72, v16 dst_sel:DWORD dst_unused:UNUSED_PAD src0_sel:WORD_1 src1_sel:DWORD
	v_fma_f16 v9, v72, v8, v9
	v_cvt_f32_f16_e32 v9, v9
	v_cmp_ne_u32_e64 s[0:1], 0, v7
	v_cndmask_b32_e64 v7, 0, 1, s[0:1]
	v_lshl_or_b32 v7, v7, 9, v2
	v_cvt_f64_f32_e32 v[9:10], v9
	v_cmp_eq_u32_e64 s[0:1], s11, v11
	v_cndmask_b32_e64 v7, v14, v7, s[0:1]
	v_lshrrev_b32_e32 v11, 16, v17
	v_mul_f64 v[9:10], v[9:10], s[12:13]
	v_and_or_b32 v7, v11, s14, v7
	v_and_b32_e32 v0, 0xffff, v0
	v_add_co_u32_e64 v5, s[0:1], s6, v5
	v_lshl_or_b32 v0, v7, 16, v0
	v_addc_co_u32_e64 v6, s[0:1], v6, v1, s[0:1]
	global_store_dword v[5:6], v0, off
	v_and_or_b32 v0, v10, s15, v9
	v_cmp_ne_u32_e64 s[0:1], 0, v0
	v_cndmask_b32_e64 v0, 0, 1, s[0:1]
	v_lshrrev_b32_e32 v7, 8, v10
	v_bfe_u32 v9, v10, 20, 11
	v_and_or_b32 v0, v7, s10, v0
	v_sub_u32_e32 v11, 0x3f1, v9
	v_or_b32_e32 v7, 0x1000, v0
	v_med3_i32 v11, v11, 0, 13
	v_lshrrev_b32_e32 v14, v11, v7
	v_lshlrev_b32_e32 v11, v11, v14
	v_mul_f16_sdwa v8, v72, v8 dst_sel:DWORD dst_unused:UNUSED_PAD src0_sel:WORD_1 src1_sel:DWORD
	v_cmp_ne_u32_e64 s[0:1], v11, v7
	v_fma_f16 v8, v72, v16, -v8
	v_cndmask_b32_e64 v7, 0, 1, s[0:1]
	v_add_u32_e32 v9, 0xfffffc10, v9
	v_cvt_f32_f16_e32 v8, v8
	v_or_b32_e32 v7, v14, v7
	v_lshl_or_b32 v11, v9, 12, v0
	v_cmp_gt_i32_e64 s[0:1], 1, v9
	v_cndmask_b32_e64 v7, v11, v7, s[0:1]
	v_and_b32_e32 v11, 7, v7
	v_cmp_lt_i32_e64 s[0:1], 5, v11
	v_cmp_eq_u32_e64 s[2:3], 3, v11
	v_lshrrev_b32_e32 v11, 2, v7
	v_cvt_f64_f32_e32 v[7:8], v8
	s_or_b64 s[0:1], s[2:3], s[0:1]
	v_addc_co_u32_e64 v11, s[0:1], 0, v11, s[0:1]
	v_mul_f64 v[7:8], v[7:8], s[12:13]
	v_cmp_gt_i32_e64 s[0:1], 31, v9
	v_cndmask_b32_e64 v11, v2, v11, s[0:1]
	v_cmp_ne_u32_e64 s[0:1], 0, v0
	v_cndmask_b32_e64 v0, 0, 1, s[0:1]
	v_lshl_or_b32 v0, v0, 9, v2
	v_cmp_eq_u32_e64 s[0:1], s11, v9
	v_cndmask_b32_e64 v0, v11, v0, s[0:1]
	v_and_or_b32 v7, v8, s15, v7
	v_lshrrev_b32_e32 v9, 16, v10
	v_cmp_ne_u32_e64 s[0:1], 0, v7
	v_and_or_b32 v0, v9, s14, v0
	v_cndmask_b32_e64 v7, 0, 1, s[0:1]
	v_lshrrev_b32_e32 v9, 8, v8
	v_bfe_u32 v10, v8, 20, 11
	v_and_or_b32 v7, v9, s10, v7
	v_sub_u32_e32 v11, 0x3f1, v10
	v_or_b32_e32 v9, 0x1000, v7
	v_med3_i32 v11, v11, 0, 13
	v_lshrrev_b32_e32 v14, v11, v9
	v_lshlrev_b32_e32 v11, v11, v14
	v_cmp_ne_u32_e64 s[0:1], v11, v9
	v_cndmask_b32_e64 v9, 0, 1, s[0:1]
	v_add_u32_e32 v11, 0xfffffc10, v10
	v_or_b32_e32 v9, v14, v9
	v_lshl_or_b32 v10, v11, 12, v7
	v_cmp_gt_i32_e64 s[0:1], 1, v11
	v_cndmask_b32_e64 v9, v10, v9, s[0:1]
	v_and_b32_e32 v10, 7, v9
	v_lshrrev_b32_e32 v14, 2, v9
	v_add_u32_e32 v9, 0x200, v65
	v_cmp_lt_i32_e64 s[0:1], 5, v10
	v_cmp_eq_u32_e64 s[2:3], 3, v10
	ds_read2_b32 v[9:10], v9 offset0:124 offset1:145
	s_or_b64 s[0:1], s[2:3], s[0:1]
	v_addc_co_u32_e64 v14, s[0:1], 0, v14, s[0:1]
	v_cmp_gt_i32_e64 s[0:1], 31, v11
	s_waitcnt lgkmcnt(0)
	v_lshrrev_b32_e32 v18, 16, v9
	v_mul_f16_sdwa v16, v71, v18 dst_sel:DWORD dst_unused:UNUSED_PAD src0_sel:WORD_1 src1_sel:DWORD
	v_fma_f16 v16, v71, v9, v16
	v_cvt_f32_f16_e32 v16, v16
	v_cndmask_b32_e64 v14, v2, v14, s[0:1]
	v_cmp_ne_u32_e64 s[0:1], 0, v7
	v_cndmask_b32_e64 v7, 0, 1, s[0:1]
	v_cvt_f64_f32_e32 v[16:17], v16
	v_lshl_or_b32 v7, v7, 9, v2
	v_cmp_eq_u32_e64 s[0:1], s11, v11
	v_cndmask_b32_e64 v7, v14, v7, s[0:1]
	v_lshrrev_b32_e32 v8, 16, v8
	v_and_or_b32 v11, v8, s14, v7
	v_mul_f64 v[7:8], v[16:17], s[12:13]
	v_and_b32_e32 v0, 0xffff, v0
	v_add_co_u32_e64 v5, s[0:1], s6, v5
	v_lshl_or_b32 v0, v11, 16, v0
	v_addc_co_u32_e64 v6, s[0:1], v6, v1, s[0:1]
	global_store_dword v[5:6], v0, off
	v_and_or_b32 v0, v8, s15, v7
	v_cmp_ne_u32_e64 s[0:1], 0, v0
	v_cndmask_b32_e64 v0, 0, 1, s[0:1]
	v_lshrrev_b32_e32 v7, 8, v8
	v_bfe_u32 v11, v8, 20, 11
	v_and_or_b32 v0, v7, s10, v0
	v_sub_u32_e32 v14, 0x3f1, v11
	v_mul_f16_sdwa v9, v71, v9 dst_sel:DWORD dst_unused:UNUSED_PAD src0_sel:WORD_1 src1_sel:DWORD
	v_or_b32_e32 v7, 0x1000, v0
	v_med3_i32 v14, v14, 0, 13
	v_fma_f16 v9, v71, v18, -v9
	v_lshrrev_b32_e32 v16, v14, v7
	v_cvt_f32_f16_e32 v9, v9
	v_lshlrev_b32_e32 v14, v14, v16
	v_cmp_ne_u32_e64 s[0:1], v14, v7
	v_cndmask_b32_e64 v7, 0, 1, s[0:1]
	v_or_b32_e32 v7, v16, v7
	v_add_u32_e32 v11, 0xfffffc10, v11
	v_cvt_f64_f32_e32 v[16:17], v9
	v_lshl_or_b32 v14, v11, 12, v0
	v_cmp_gt_i32_e64 s[0:1], 1, v11
	v_cndmask_b32_e64 v7, v14, v7, s[0:1]
	v_and_b32_e32 v14, 7, v7
	v_cmp_lt_i32_e64 s[0:1], 5, v14
	v_cmp_eq_u32_e64 s[2:3], 3, v14
	v_mul_f64 v[16:17], v[16:17], s[12:13]
	v_lshrrev_b32_e32 v7, 2, v7
	s_or_b64 s[0:1], s[2:3], s[0:1]
	v_addc_co_u32_e64 v7, s[0:1], 0, v7, s[0:1]
	v_cmp_gt_i32_e64 s[0:1], 31, v11
	v_cndmask_b32_e64 v7, v2, v7, s[0:1]
	v_cmp_ne_u32_e64 s[0:1], 0, v0
	v_cndmask_b32_e64 v0, 0, 1, s[0:1]
	v_lshl_or_b32 v0, v0, 9, v2
	v_cmp_eq_u32_e64 s[0:1], s11, v11
	v_cndmask_b32_e64 v0, v7, v0, s[0:1]
	v_lshrrev_b32_e32 v7, 16, v8
	v_and_or_b32 v0, v7, s14, v0
	v_and_or_b32 v7, v17, s15, v16
	v_cmp_ne_u32_e64 s[0:1], 0, v7
	v_cndmask_b32_e64 v7, 0, 1, s[0:1]
	v_lshrrev_b32_e32 v8, 8, v17
	v_bfe_u32 v9, v17, 20, 11
	v_and_or_b32 v7, v8, s10, v7
	v_sub_u32_e32 v11, 0x3f1, v9
	v_or_b32_e32 v8, 0x1000, v7
	v_med3_i32 v11, v11, 0, 13
	v_lshrrev_b32_e32 v14, v11, v8
	v_lshlrev_b32_e32 v11, v11, v14
	v_cmp_ne_u32_e64 s[0:1], v11, v8
	v_cndmask_b32_e64 v8, 0, 1, s[0:1]
	v_add_u32_e32 v9, 0xfffffc10, v9
	v_or_b32_e32 v8, v14, v8
	v_lshl_or_b32 v11, v9, 12, v7
	v_cmp_gt_i32_e64 s[0:1], 1, v9
	v_cndmask_b32_e64 v8, v11, v8, s[0:1]
	v_and_b32_e32 v11, 7, v8
	v_cmp_lt_i32_e64 s[0:1], 5, v11
	v_cmp_eq_u32_e64 s[2:3], 3, v11
	v_lshrrev_b32_e32 v8, 2, v8
	s_or_b64 s[0:1], s[2:3], s[0:1]
	v_addc_co_u32_e64 v8, s[0:1], 0, v8, s[0:1]
	v_cmp_gt_i32_e64 s[0:1], 31, v9
	v_lshrrev_b32_e32 v14, 16, v10
	v_cndmask_b32_e64 v11, v2, v8, s[0:1]
	v_mul_f16_sdwa v8, v70, v14 dst_sel:DWORD dst_unused:UNUSED_PAD src0_sel:WORD_1 src1_sel:DWORD
	v_fma_f16 v8, v70, v10, v8
	v_cvt_f32_f16_e32 v8, v8
	v_cmp_ne_u32_e64 s[0:1], 0, v7
	v_cndmask_b32_e64 v7, 0, 1, s[0:1]
	v_lshl_or_b32 v16, v7, 9, v2
	v_cvt_f64_f32_e32 v[7:8], v8
	v_cmp_eq_u32_e64 s[0:1], s11, v9
	v_cndmask_b32_e64 v9, v11, v16, s[0:1]
	v_lshrrev_b32_e32 v11, 16, v17
	v_mul_f64 v[7:8], v[7:8], s[12:13]
	v_and_or_b32 v9, v11, s14, v9
	v_and_b32_e32 v0, 0xffff, v0
	v_add_co_u32_e64 v5, s[0:1], s6, v5
	v_lshl_or_b32 v0, v9, 16, v0
	v_addc_co_u32_e64 v6, s[0:1], v6, v1, s[0:1]
	global_store_dword v[5:6], v0, off
	v_and_or_b32 v0, v8, s15, v7
	v_cmp_ne_u32_e64 s[0:1], 0, v0
	v_cndmask_b32_e64 v0, 0, 1, s[0:1]
	v_lshrrev_b32_e32 v7, 8, v8
	v_bfe_u32 v9, v8, 20, 11
	v_and_or_b32 v0, v7, s10, v0
	v_sub_u32_e32 v11, 0x3f1, v9
	v_or_b32_e32 v7, 0x1000, v0
	v_med3_i32 v11, v11, 0, 13
	v_lshrrev_b32_e32 v16, v11, v7
	v_lshlrev_b32_e32 v11, v11, v16
	v_mul_f16_sdwa v10, v70, v10 dst_sel:DWORD dst_unused:UNUSED_PAD src0_sel:WORD_1 src1_sel:DWORD
	v_cmp_ne_u32_e64 s[0:1], v11, v7
	v_fma_f16 v10, v70, v14, -v10
	v_cndmask_b32_e64 v7, 0, 1, s[0:1]
	v_add_u32_e32 v11, 0xfffffc10, v9
	v_cvt_f32_f16_e32 v10, v10
	v_or_b32_e32 v7, v16, v7
	v_lshl_or_b32 v9, v11, 12, v0
	v_cmp_gt_i32_e64 s[0:1], 1, v11
	v_cndmask_b32_e64 v7, v9, v7, s[0:1]
	v_and_b32_e32 v9, 7, v7
	v_cmp_lt_i32_e64 s[0:1], 5, v9
	v_cmp_eq_u32_e64 s[2:3], 3, v9
	v_cvt_f64_f32_e32 v[9:10], v10
	v_lshrrev_b32_e32 v7, 2, v7
	s_or_b64 s[0:1], s[2:3], s[0:1]
	v_addc_co_u32_e64 v7, s[0:1], 0, v7, s[0:1]
	v_mul_f64 v[9:10], v[9:10], s[12:13]
	v_cmp_gt_i32_e64 s[0:1], 31, v11
	v_cndmask_b32_e64 v7, v2, v7, s[0:1]
	v_cmp_ne_u32_e64 s[0:1], 0, v0
	v_cndmask_b32_e64 v0, 0, 1, s[0:1]
	v_lshl_or_b32 v0, v0, 9, v2
	v_cmp_eq_u32_e64 s[0:1], s11, v11
	v_cndmask_b32_e64 v0, v7, v0, s[0:1]
	v_lshrrev_b32_e32 v7, 16, v8
	v_and_or_b32 v0, v7, s14, v0
	v_and_or_b32 v7, v10, s15, v9
	v_cmp_ne_u32_e64 s[0:1], 0, v7
	v_cndmask_b32_e64 v7, 0, 1, s[0:1]
	v_lshrrev_b32_e32 v8, 8, v10
	v_and_or_b32 v9, v8, s10, v7
	v_bfe_u32 v8, v10, 20, 11
	v_sub_u32_e32 v11, 0x3f1, v8
	v_or_b32_e32 v7, 0x1000, v9
	v_med3_i32 v11, v11, 0, 13
	v_lshrrev_b32_e32 v14, v11, v7
	v_lshlrev_b32_e32 v11, v11, v14
	v_cmp_ne_u32_e64 s[0:1], v11, v7
	v_cndmask_b32_e64 v7, 0, 1, s[0:1]
	v_add_u32_e32 v11, 0xfffffc10, v8
	v_or_b32_e32 v7, v14, v7
	v_lshl_or_b32 v8, v11, 12, v9
	v_cmp_gt_i32_e64 s[0:1], 1, v11
	v_cndmask_b32_e64 v7, v8, v7, s[0:1]
	v_and_b32_e32 v8, 7, v7
	v_cmp_lt_i32_e64 s[0:1], 5, v8
	v_cmp_eq_u32_e64 s[2:3], 3, v8
	v_lshrrev_b32_e32 v14, 2, v7
	ds_read2_b32 v[7:8], v15 offset0:38 offset1:59
	s_or_b64 s[0:1], s[2:3], s[0:1]
	v_addc_co_u32_e64 v14, s[0:1], 0, v14, s[0:1]
	v_cmp_gt_i32_e64 s[0:1], 31, v11
	s_waitcnt lgkmcnt(0)
	v_lshrrev_b32_e32 v18, 16, v7
	v_mul_f16_sdwa v16, v69, v18 dst_sel:DWORD dst_unused:UNUSED_PAD src0_sel:WORD_1 src1_sel:DWORD
	v_fma_f16 v16, v69, v7, v16
	v_cvt_f32_f16_e32 v16, v16
	v_cndmask_b32_e64 v14, v2, v14, s[0:1]
	v_cmp_ne_u32_e64 s[0:1], 0, v9
	v_cndmask_b32_e64 v9, 0, 1, s[0:1]
	v_cvt_f64_f32_e32 v[16:17], v16
	v_lshl_or_b32 v9, v9, 9, v2
	v_cmp_eq_u32_e64 s[0:1], s11, v11
	v_cndmask_b32_e64 v9, v14, v9, s[0:1]
	v_lshrrev_b32_e32 v10, 16, v10
	v_and_or_b32 v11, v10, s14, v9
	v_mul_f64 v[9:10], v[16:17], s[12:13]
	v_and_b32_e32 v0, 0xffff, v0
	v_add_co_u32_e64 v5, s[0:1], s6, v5
	v_lshl_or_b32 v0, v11, 16, v0
	v_addc_co_u32_e64 v6, s[0:1], v6, v1, s[0:1]
	global_store_dword v[5:6], v0, off
	v_and_or_b32 v0, v10, s15, v9
	v_cmp_ne_u32_e64 s[0:1], 0, v0
	v_cndmask_b32_e64 v0, 0, 1, s[0:1]
	v_lshrrev_b32_e32 v9, 8, v10
	v_bfe_u32 v11, v10, 20, 11
	v_and_or_b32 v0, v9, s10, v0
	v_sub_u32_e32 v14, 0x3f1, v11
	v_mul_f16_sdwa v7, v69, v7 dst_sel:DWORD dst_unused:UNUSED_PAD src0_sel:WORD_1 src1_sel:DWORD
	v_or_b32_e32 v9, 0x1000, v0
	v_med3_i32 v14, v14, 0, 13
	v_fma_f16 v7, v69, v18, -v7
	v_lshrrev_b32_e32 v16, v14, v9
	v_cvt_f32_f16_e32 v7, v7
	v_lshlrev_b32_e32 v14, v14, v16
	v_cmp_ne_u32_e64 s[0:1], v14, v9
	v_cndmask_b32_e64 v9, 0, 1, s[0:1]
	v_or_b32_e32 v9, v16, v9
	v_add_u32_e32 v11, 0xfffffc10, v11
	v_cvt_f64_f32_e32 v[16:17], v7
	v_lshl_or_b32 v14, v11, 12, v0
	v_cmp_gt_i32_e64 s[0:1], 1, v11
	v_cndmask_b32_e64 v9, v14, v9, s[0:1]
	v_and_b32_e32 v14, 7, v9
	v_cmp_lt_i32_e64 s[0:1], 5, v14
	v_cmp_eq_u32_e64 s[2:3], 3, v14
	v_mul_f64 v[16:17], v[16:17], s[12:13]
	v_lshrrev_b32_e32 v9, 2, v9
	s_or_b64 s[0:1], s[2:3], s[0:1]
	v_addc_co_u32_e64 v7, s[0:1], 0, v9, s[0:1]
	v_cmp_gt_i32_e64 s[0:1], 31, v11
	v_cndmask_b32_e64 v7, v2, v7, s[0:1]
	v_cmp_ne_u32_e64 s[0:1], 0, v0
	v_cndmask_b32_e64 v0, 0, 1, s[0:1]
	v_lshl_or_b32 v0, v0, 9, v2
	v_cmp_eq_u32_e64 s[0:1], s11, v11
	v_cndmask_b32_e64 v0, v7, v0, s[0:1]
	v_lshrrev_b32_e32 v7, 16, v10
	v_and_or_b32 v0, v7, s14, v0
	v_and_or_b32 v7, v17, s15, v16
	v_cmp_ne_u32_e64 s[0:1], 0, v7
	v_cndmask_b32_e64 v7, 0, 1, s[0:1]
	v_lshrrev_b32_e32 v9, 8, v17
	v_bfe_u32 v10, v17, 20, 11
	v_and_or_b32 v7, v9, s10, v7
	v_sub_u32_e32 v11, 0x3f1, v10
	v_or_b32_e32 v9, 0x1000, v7
	v_med3_i32 v11, v11, 0, 13
	v_lshrrev_b32_e32 v14, v11, v9
	v_lshlrev_b32_e32 v11, v11, v14
	v_cmp_ne_u32_e64 s[0:1], v11, v9
	v_cndmask_b32_e64 v9, 0, 1, s[0:1]
	v_add_u32_e32 v11, 0xfffffc10, v10
	v_or_b32_e32 v9, v14, v9
	v_lshl_or_b32 v10, v11, 12, v7
	v_cmp_gt_i32_e64 s[0:1], 1, v11
	v_cndmask_b32_e64 v9, v10, v9, s[0:1]
	v_and_b32_e32 v10, 7, v9
	v_cmp_lt_i32_e64 s[0:1], 5, v10
	v_cmp_eq_u32_e64 s[2:3], 3, v10
	v_lshrrev_b32_e32 v9, 2, v9
	s_or_b64 s[0:1], s[2:3], s[0:1]
	v_addc_co_u32_e64 v9, s[0:1], 0, v9, s[0:1]
	v_cmp_gt_i32_e64 s[0:1], 31, v11
	v_lshrrev_b32_e32 v16, 16, v8
	v_cndmask_b32_e64 v14, v2, v9, s[0:1]
	v_mul_f16_sdwa v9, v68, v16 dst_sel:DWORD dst_unused:UNUSED_PAD src0_sel:WORD_1 src1_sel:DWORD
	v_fma_f16 v9, v68, v8, v9
	v_cvt_f32_f16_e32 v9, v9
	v_cmp_ne_u32_e64 s[0:1], 0, v7
	v_cndmask_b32_e64 v7, 0, 1, s[0:1]
	v_lshl_or_b32 v7, v7, 9, v2
	v_cvt_f64_f32_e32 v[9:10], v9
	v_cmp_eq_u32_e64 s[0:1], s11, v11
	v_cndmask_b32_e64 v7, v14, v7, s[0:1]
	v_lshrrev_b32_e32 v11, 16, v17
	v_mul_f64 v[9:10], v[9:10], s[12:13]
	v_and_or_b32 v7, v11, s14, v7
	v_and_b32_e32 v0, 0xffff, v0
	v_add_co_u32_e64 v5, s[0:1], s6, v5
	v_lshl_or_b32 v0, v7, 16, v0
	v_addc_co_u32_e64 v6, s[0:1], v6, v1, s[0:1]
	global_store_dword v[5:6], v0, off
	v_and_or_b32 v0, v10, s15, v9
	v_cmp_ne_u32_e64 s[0:1], 0, v0
	v_cndmask_b32_e64 v0, 0, 1, s[0:1]
	v_lshrrev_b32_e32 v7, 8, v10
	v_bfe_u32 v9, v10, 20, 11
	v_and_or_b32 v0, v7, s10, v0
	v_sub_u32_e32 v11, 0x3f1, v9
	v_or_b32_e32 v7, 0x1000, v0
	v_med3_i32 v11, v11, 0, 13
	v_lshrrev_b32_e32 v14, v11, v7
	v_lshlrev_b32_e32 v11, v11, v14
	v_mul_f16_sdwa v8, v68, v8 dst_sel:DWORD dst_unused:UNUSED_PAD src0_sel:WORD_1 src1_sel:DWORD
	v_cmp_ne_u32_e64 s[0:1], v11, v7
	v_fma_f16 v8, v68, v16, -v8
	v_cndmask_b32_e64 v7, 0, 1, s[0:1]
	v_add_u32_e32 v9, 0xfffffc10, v9
	v_cvt_f32_f16_e32 v8, v8
	v_or_b32_e32 v7, v14, v7
	v_lshl_or_b32 v11, v9, 12, v0
	v_cmp_gt_i32_e64 s[0:1], 1, v9
	v_cndmask_b32_e64 v7, v11, v7, s[0:1]
	v_and_b32_e32 v11, 7, v7
	v_cmp_lt_i32_e64 s[0:1], 5, v11
	v_cmp_eq_u32_e64 s[2:3], 3, v11
	v_lshrrev_b32_e32 v11, 2, v7
	v_cvt_f64_f32_e32 v[7:8], v8
	s_or_b64 s[0:1], s[2:3], s[0:1]
	v_addc_co_u32_e64 v11, s[0:1], 0, v11, s[0:1]
	v_mul_f64 v[7:8], v[7:8], s[12:13]
	v_cmp_gt_i32_e64 s[0:1], 31, v9
	v_cndmask_b32_e64 v11, v2, v11, s[0:1]
	v_cmp_ne_u32_e64 s[0:1], 0, v0
	v_cndmask_b32_e64 v0, 0, 1, s[0:1]
	v_lshl_or_b32 v0, v0, 9, v2
	v_cmp_eq_u32_e64 s[0:1], s11, v9
	v_cndmask_b32_e64 v0, v11, v0, s[0:1]
	v_and_or_b32 v7, v8, s15, v7
	v_lshrrev_b32_e32 v9, 16, v10
	v_cmp_ne_u32_e64 s[0:1], 0, v7
	v_and_or_b32 v0, v9, s14, v0
	v_cndmask_b32_e64 v7, 0, 1, s[0:1]
	v_lshrrev_b32_e32 v9, 8, v8
	v_bfe_u32 v10, v8, 20, 11
	v_and_or_b32 v7, v9, s10, v7
	v_sub_u32_e32 v11, 0x3f1, v10
	v_or_b32_e32 v9, 0x1000, v7
	v_med3_i32 v11, v11, 0, 13
	v_lshrrev_b32_e32 v14, v11, v9
	v_lshlrev_b32_e32 v11, v11, v14
	v_cmp_ne_u32_e64 s[0:1], v11, v9
	v_cndmask_b32_e64 v9, 0, 1, s[0:1]
	v_add_u32_e32 v11, 0xfffffc10, v10
	v_or_b32_e32 v9, v14, v9
	v_lshl_or_b32 v10, v11, 12, v7
	v_cmp_gt_i32_e64 s[0:1], 1, v11
	v_cndmask_b32_e64 v9, v10, v9, s[0:1]
	ds_read_b32 v14, v65 offset:1344
	v_and_b32_e32 v10, 7, v9
	v_cmp_lt_i32_e64 s[0:1], 5, v10
	v_cmp_eq_u32_e64 s[2:3], 3, v10
	v_lshrrev_b32_e32 v9, 2, v9
	s_or_b64 s[0:1], s[2:3], s[0:1]
	v_addc_co_u32_e64 v9, s[0:1], 0, v9, s[0:1]
	v_cmp_gt_i32_e64 s[0:1], 31, v11
	s_waitcnt lgkmcnt(0)
	v_lshrrev_b32_e32 v17, 16, v14
	v_cndmask_b32_e64 v16, v2, v9, s[0:1]
	v_mul_f16_sdwa v9, v67, v17 dst_sel:DWORD dst_unused:UNUSED_PAD src0_sel:WORD_1 src1_sel:DWORD
	v_fma_f16 v9, v67, v14, v9
	v_cvt_f32_f16_e32 v9, v9
	v_cmp_ne_u32_e64 s[0:1], 0, v7
	v_cndmask_b32_e64 v7, 0, 1, s[0:1]
	v_lshl_or_b32 v7, v7, 9, v2
	v_cvt_f64_f32_e32 v[9:10], v9
	v_cmp_eq_u32_e64 s[0:1], s11, v11
	v_cndmask_b32_e64 v7, v16, v7, s[0:1]
	v_lshrrev_b32_e32 v8, 16, v8
	v_and_or_b32 v11, v8, s14, v7
	v_mul_f64 v[7:8], v[9:10], s[12:13]
	v_and_b32_e32 v0, 0xffff, v0
	v_add_co_u32_e64 v5, s[0:1], s6, v5
	v_lshl_or_b32 v0, v11, 16, v0
	v_addc_co_u32_e64 v6, s[0:1], v6, v1, s[0:1]
	global_store_dword v[5:6], v0, off
	v_and_or_b32 v0, v8, s15, v7
	v_cmp_ne_u32_e64 s[0:1], 0, v0
	v_cndmask_b32_e64 v0, 0, 1, s[0:1]
	v_lshrrev_b32_e32 v7, 8, v8
	v_bfe_u32 v9, v8, 20, 11
	v_and_or_b32 v0, v7, s10, v0
	v_sub_u32_e32 v10, 0x3f1, v9
	v_or_b32_e32 v7, 0x1000, v0
	v_med3_i32 v10, v10, 0, 13
	v_lshrrev_b32_e32 v11, v10, v7
	v_lshlrev_b32_e32 v10, v10, v11
	v_cmp_ne_u32_e64 s[0:1], v10, v7
	v_mul_f16_sdwa v10, v67, v14 dst_sel:DWORD dst_unused:UNUSED_PAD src0_sel:WORD_1 src1_sel:DWORD
	v_cndmask_b32_e64 v7, 0, 1, s[0:1]
	v_fma_f16 v10, v67, v17, -v10
	v_or_b32_e32 v7, v11, v7
	v_add_u32_e32 v11, 0xfffffc10, v9
	v_cvt_f32_f16_e32 v10, v10
	v_lshl_or_b32 v9, v11, 12, v0
	v_cmp_gt_i32_e64 s[0:1], 1, v11
	v_cndmask_b32_e64 v7, v9, v7, s[0:1]
	v_and_b32_e32 v9, 7, v7
	v_cmp_lt_i32_e64 s[0:1], 5, v9
	v_cmp_eq_u32_e64 s[2:3], 3, v9
	v_cvt_f64_f32_e32 v[9:10], v10
	v_lshrrev_b32_e32 v7, 2, v7
	s_or_b64 s[0:1], s[2:3], s[0:1]
	v_addc_co_u32_e64 v7, s[0:1], 0, v7, s[0:1]
	v_mul_f64 v[9:10], v[9:10], s[12:13]
	v_cmp_gt_i32_e64 s[0:1], 31, v11
	v_cndmask_b32_e64 v7, v2, v7, s[0:1]
	v_cmp_ne_u32_e64 s[0:1], 0, v0
	v_cndmask_b32_e64 v0, 0, 1, s[0:1]
	v_lshl_or_b32 v0, v0, 9, v2
	v_cmp_eq_u32_e64 s[0:1], s11, v11
	v_cndmask_b32_e64 v0, v7, v0, s[0:1]
	v_lshrrev_b32_e32 v7, 16, v8
	v_and_or_b32 v0, v7, s14, v0
	v_and_or_b32 v7, v10, s15, v9
	v_cmp_ne_u32_e64 s[0:1], 0, v7
	v_cndmask_b32_e64 v7, 0, 1, s[0:1]
	v_lshrrev_b32_e32 v8, 8, v10
	v_bfe_u32 v9, v10, 20, 11
	v_and_or_b32 v7, v8, s10, v7
	v_sub_u32_e32 v11, 0x3f1, v9
	v_or_b32_e32 v8, 0x1000, v7
	v_med3_i32 v11, v11, 0, 13
	v_lshrrev_b32_e32 v14, v11, v8
	v_lshlrev_b32_e32 v11, v11, v14
	v_cmp_ne_u32_e64 s[0:1], v11, v8
	v_cndmask_b32_e64 v8, 0, 1, s[0:1]
	v_add_u32_e32 v9, 0xfffffc10, v9
	v_or_b32_e32 v8, v14, v8
	v_lshl_or_b32 v11, v9, 12, v7
	v_cmp_gt_i32_e64 s[0:1], 1, v9
	v_cndmask_b32_e64 v8, v11, v8, s[0:1]
	v_and_b32_e32 v11, 7, v8
	v_cmp_lt_i32_e64 s[0:1], 5, v11
	v_cmp_eq_u32_e64 s[2:3], 3, v11
	v_lshrrev_b32_e32 v8, 2, v8
	s_or_b64 s[0:1], s[2:3], s[0:1]
	v_addc_co_u32_e64 v8, s[0:1], 0, v8, s[0:1]
	v_cmp_gt_i32_e64 s[0:1], 31, v9
	v_cndmask_b32_e64 v8, v2, v8, s[0:1]
	v_cmp_ne_u32_e64 s[0:1], 0, v7
	v_cndmask_b32_e64 v7, 0, 1, s[0:1]
	v_lshl_or_b32 v7, v7, 9, v2
	v_cmp_eq_u32_e64 s[0:1], s11, v9
	v_cndmask_b32_e64 v7, v8, v7, s[0:1]
	v_lshrrev_b32_e32 v8, 16, v10
	v_and_or_b32 v7, v8, s14, v7
	v_and_b32_e32 v0, 0xffff, v0
	v_lshl_or_b32 v7, v7, 16, v0
	v_add_co_u32_e64 v0, s[0:1], s6, v5
	v_addc_co_u32_e64 v1, s[0:1], v6, v1, s[0:1]
	global_store_dword v[0:1], v7, off
	s_and_b64 exec, exec, vcc
	s_cbranch_execz .LBB0_15
; %bb.14:
	global_load_dword v7, v[12:13], off offset:68
	ds_read2_b32 v[5:6], v65 offset0:17 offset1:38
	s_mul_hi_u32 s16, s8, 0xa8
	s_waitcnt lgkmcnt(0)
	v_lshrrev_b32_e32 v8, 16, v5
	s_waitcnt vmcnt(0)
	v_mul_f16_sdwa v9, v8, v7 dst_sel:DWORD dst_unused:UNUSED_PAD src0_sel:DWORD src1_sel:WORD_1
	v_fma_f16 v9, v5, v7, v9
	v_mul_f16_sdwa v5, v5, v7 dst_sel:DWORD dst_unused:UNUSED_PAD src0_sel:DWORD src1_sel:WORD_1
	v_cvt_f32_f16_e32 v9, v9
	v_fma_f16 v5, v7, v8, -v5
	v_cvt_f32_f16_e32 v5, v5
	v_cvt_f64_f32_e32 v[7:8], v9
	v_cvt_f64_f32_e32 v[9:10], v5
	v_mov_b32_e32 v5, 0xfffffb04
	v_mul_f64 v[7:8], v[7:8], s[12:13]
	v_mad_u64_u32 v[16:17], s[0:1], s8, v5, v[0:1]
	v_mul_f64 v[0:1], v[9:10], s[12:13]
	s_mul_i32 s0, s9, 0xfffffb04
	s_sub_i32 s0, s0, s8
	v_add_u32_e32 v17, s0, v17
	v_and_or_b32 v5, v8, s15, v7
	v_cmp_ne_u32_e32 vcc, 0, v5
	v_lshrrev_b32_e32 v7, 8, v8
	v_and_or_b32 v0, v1, s15, v0
	v_bfe_u32 v9, v8, 20, 11
	v_cndmask_b32_e64 v5, 0, 1, vcc
	v_cmp_ne_u32_e32 vcc, 0, v0
	v_lshrrev_b32_e32 v10, 8, v1
	v_bfe_u32 v11, v1, 20, 11
	v_sub_u32_e32 v14, 0x3f1, v9
	v_cndmask_b32_e64 v0, 0, 1, vcc
	v_and_or_b32 v5, v7, s10, v5
	v_sub_u32_e32 v18, 0x3f1, v11
	v_med3_i32 v7, v14, 0, 13
	v_and_or_b32 v0, v10, s10, v0
	v_or_b32_e32 v14, 0x1000, v5
	v_add_u32_e32 v9, 0xfffffc10, v9
	v_med3_i32 v10, v18, 0, 13
	v_cmp_ne_u32_e32 vcc, 0, v5
	v_or_b32_e32 v19, 0x1000, v0
	v_lshrrev_b32_e32 v21, v7, v14
	v_add_u32_e32 v11, 0xfffffc10, v11
	v_lshl_or_b32 v18, v9, 12, v5
	v_cndmask_b32_e64 v5, 0, 1, vcc
	v_cmp_ne_u32_e32 vcc, 0, v0
	v_lshrrev_b32_e32 v22, v10, v19
	v_lshlrev_b32_e32 v7, v7, v21
	v_lshl_or_b32 v20, v11, 12, v0
	v_cndmask_b32_e64 v0, 0, 1, vcc
	v_lshlrev_b32_e32 v10, v10, v22
	v_cmp_ne_u32_e32 vcc, v7, v14
	v_cndmask_b32_e64 v7, 0, 1, vcc
	v_cmp_ne_u32_e32 vcc, v10, v19
	v_cndmask_b32_e64 v10, 0, 1, vcc
	v_or_b32_e32 v7, v21, v7
	v_cmp_gt_i32_e32 vcc, 1, v9
	v_cndmask_b32_e32 v7, v18, v7, vcc
	v_or_b32_e32 v10, v22, v10
	v_cmp_gt_i32_e32 vcc, 1, v11
	v_and_b32_e32 v14, 7, v7
	v_cndmask_b32_e32 v10, v20, v10, vcc
	v_cmp_lt_i32_e32 vcc, 5, v14
	v_cmp_eq_u32_e64 s[0:1], 3, v14
	v_lshrrev_b32_e32 v7, 2, v7
	v_and_b32_e32 v18, 7, v10
	s_or_b64 vcc, s[0:1], vcc
	v_cmp_lt_i32_e64 s[2:3], 5, v18
	v_cmp_eq_u32_e64 s[4:5], 3, v18
	v_addc_co_u32_e32 v7, vcc, 0, v7, vcc
	v_lshrrev_b32_e32 v10, 2, v10
	s_or_b64 vcc, s[4:5], s[2:3]
	v_addc_co_u32_e32 v10, vcc, 0, v10, vcc
	v_cmp_gt_i32_e32 vcc, 31, v9
	v_cndmask_b32_e32 v7, v2, v7, vcc
	v_cmp_gt_i32_e32 vcc, 31, v11
	v_lshl_or_b32 v5, v5, 9, v2
	v_cndmask_b32_e32 v10, v2, v10, vcc
	v_cmp_eq_u32_e32 vcc, s11, v9
	v_lshrrev_b32_e32 v8, 16, v8
	v_lshl_or_b32 v0, v0, 9, v2
	v_cndmask_b32_e32 v5, v7, v5, vcc
	v_cmp_eq_u32_e32 vcc, s11, v11
	v_lshrrev_b32_e32 v1, 16, v1
	v_cndmask_b32_e32 v0, v10, v0, vcc
	v_and_or_b32 v5, v8, s14, v5
	v_and_or_b32 v0, v1, s14, v0
	v_and_b32_e32 v1, 0xffff, v5
	v_lshl_or_b32 v0, v0, 16, v1
	global_store_dword v[16:17], v0, off
	global_load_dword v0, v[12:13], off offset:152
	v_lshrrev_b32_e32 v1, 16, v6
	v_add_co_u32_e32 v9, vcc, s6, v16
	s_waitcnt vmcnt(0)
	v_mul_f16_sdwa v5, v1, v0 dst_sel:DWORD dst_unused:UNUSED_PAD src0_sel:DWORD src1_sel:WORD_1
	v_fma_f16 v5, v6, v0, v5
	v_mul_f16_sdwa v6, v6, v0 dst_sel:DWORD dst_unused:UNUSED_PAD src0_sel:DWORD src1_sel:WORD_1
	v_cvt_f32_f16_e32 v5, v5
	v_fma_f16 v0, v0, v1, -v6
	v_cvt_f32_f16_e32 v6, v0
	v_cvt_f64_f32_e32 v[0:1], v5
	v_cvt_f64_f32_e32 v[5:6], v6
	v_mul_f64 v[7:8], v[0:1], s[12:13]
	v_mov_b32_e32 v0, s7
	v_mul_f64 v[5:6], v[5:6], s[12:13]
	v_addc_co_u32_e32 v10, vcc, v17, v0, vcc
	s_mul_i32 s7, s8, 0xa8
	v_and_or_b32 v1, v8, s15, v7
	v_cmp_ne_u32_e32 vcc, 0, v1
	v_and_or_b32 v5, v6, s15, v5
	v_lshrrev_b32_e32 v7, 8, v8
	v_bfe_u32 v11, v8, 20, 11
	v_cndmask_b32_e64 v1, 0, 1, vcc
	v_cmp_ne_u32_e32 vcc, 0, v5
	v_lshrrev_b32_e32 v14, 8, v6
	v_bfe_u32 v16, v6, 20, 11
	v_sub_u32_e32 v17, 0x3f1, v11
	v_cndmask_b32_e64 v5, 0, 1, vcc
	v_and_or_b32 v1, v7, s10, v1
	v_sub_u32_e32 v18, 0x3f1, v16
	v_med3_i32 v7, v17, 0, 13
	v_and_or_b32 v5, v14, s10, v5
	v_or_b32_e32 v17, 0x1000, v1
	v_add_u32_e32 v11, 0xfffffc10, v11
	v_med3_i32 v14, v18, 0, 13
	v_cmp_ne_u32_e32 vcc, 0, v1
	v_or_b32_e32 v19, 0x1000, v5
	v_lshrrev_b32_e32 v21, v7, v17
	v_add_u32_e32 v16, 0xfffffc10, v16
	v_lshl_or_b32 v18, v11, 12, v1
	v_cndmask_b32_e64 v1, 0, 1, vcc
	v_cmp_ne_u32_e32 vcc, 0, v5
	v_lshrrev_b32_e32 v22, v14, v19
	v_lshlrev_b32_e32 v7, v7, v21
	v_lshl_or_b32 v20, v16, 12, v5
	v_cndmask_b32_e64 v5, 0, 1, vcc
	v_lshlrev_b32_e32 v14, v14, v22
	v_cmp_ne_u32_e32 vcc, v7, v17
	v_cndmask_b32_e64 v7, 0, 1, vcc
	v_cmp_ne_u32_e32 vcc, v14, v19
	v_cndmask_b32_e64 v14, 0, 1, vcc
	v_or_b32_e32 v7, v21, v7
	v_cmp_gt_i32_e32 vcc, 1, v11
	v_cndmask_b32_e32 v7, v18, v7, vcc
	v_or_b32_e32 v14, v22, v14
	v_cmp_gt_i32_e32 vcc, 1, v16
	v_and_b32_e32 v17, 7, v7
	v_cndmask_b32_e32 v14, v20, v14, vcc
	v_cmp_lt_i32_e32 vcc, 5, v17
	v_cmp_eq_u32_e64 s[0:1], 3, v17
	v_lshrrev_b32_e32 v7, 2, v7
	v_and_b32_e32 v18, 7, v14
	s_or_b64 vcc, s[0:1], vcc
	v_cmp_lt_i32_e64 s[2:3], 5, v18
	v_cmp_eq_u32_e64 s[4:5], 3, v18
	v_addc_co_u32_e32 v7, vcc, 0, v7, vcc
	v_lshrrev_b32_e32 v14, 2, v14
	s_or_b64 vcc, s[4:5], s[2:3]
	v_addc_co_u32_e32 v14, vcc, 0, v14, vcc
	v_cmp_gt_i32_e32 vcc, 31, v11
	v_cndmask_b32_e32 v7, v2, v7, vcc
	v_cmp_gt_i32_e32 vcc, 31, v16
	v_lshl_or_b32 v1, v1, 9, v2
	v_cndmask_b32_e32 v14, v2, v14, vcc
	v_cmp_eq_u32_e32 vcc, s11, v11
	v_lshrrev_b32_e32 v8, 16, v8
	v_lshl_or_b32 v5, v5, 9, v2
	v_cndmask_b32_e32 v1, v7, v1, vcc
	v_cmp_eq_u32_e32 vcc, s11, v16
	v_lshrrev_b32_e32 v6, 16, v6
	v_cndmask_b32_e32 v5, v14, v5, vcc
	v_and_or_b32 v1, v8, s14, v1
	v_and_or_b32 v5, v6, s14, v5
	v_and_b32_e32 v1, 0xffff, v1
	v_lshl_or_b32 v1, v5, 16, v1
	global_store_dword v[9:10], v1, off
	global_load_dword v1, v[12:13], off offset:236
	ds_read2_b32 v[5:6], v65 offset0:59 offset1:80
	v_add_co_u32_e32 v9, vcc, s6, v9
	v_addc_co_u32_e32 v10, vcc, v10, v0, vcc
	s_waitcnt lgkmcnt(0)
	v_lshrrev_b32_e32 v7, 16, v5
	s_waitcnt vmcnt(0)
	v_mul_f16_sdwa v8, v7, v1 dst_sel:DWORD dst_unused:UNUSED_PAD src0_sel:DWORD src1_sel:WORD_1
	v_fma_f16 v8, v5, v1, v8
	v_mul_f16_sdwa v5, v5, v1 dst_sel:DWORD dst_unused:UNUSED_PAD src0_sel:DWORD src1_sel:WORD_1
	v_cvt_f32_f16_e32 v8, v8
	v_fma_f16 v1, v1, v7, -v5
	v_cvt_f32_f16_e32 v1, v1
	v_cvt_f64_f32_e32 v[7:8], v8
	v_cvt_f64_f32_e32 v[16:17], v1
	v_mul_f64 v[7:8], v[7:8], s[12:13]
	v_mul_f64 v[16:17], v[16:17], s[12:13]
	v_and_or_b32 v1, v8, s15, v7
	v_cmp_ne_u32_e32 vcc, 0, v1
	v_and_or_b32 v11, v17, s15, v16
	v_lshrrev_b32_e32 v5, 8, v8
	v_bfe_u32 v7, v8, 20, 11
	v_cndmask_b32_e64 v1, 0, 1, vcc
	v_cmp_ne_u32_e32 vcc, 0, v11
	v_lshrrev_b32_e32 v14, 8, v17
	v_bfe_u32 v16, v17, 20, 11
	v_sub_u32_e32 v18, 0x3f1, v7
	v_cndmask_b32_e64 v11, 0, 1, vcc
	v_and_or_b32 v1, v5, s10, v1
	v_sub_u32_e32 v19, 0x3f1, v16
	v_med3_i32 v5, v18, 0, 13
	v_and_or_b32 v11, v14, s10, v11
	v_or_b32_e32 v18, 0x1000, v1
	v_add_u32_e32 v7, 0xfffffc10, v7
	v_med3_i32 v14, v19, 0, 13
	v_cmp_ne_u32_e32 vcc, 0, v1
	v_or_b32_e32 v20, 0x1000, v11
	v_lshrrev_b32_e32 v22, v5, v18
	v_add_u32_e32 v16, 0xfffffc10, v16
	v_lshl_or_b32 v19, v7, 12, v1
	v_cndmask_b32_e64 v1, 0, 1, vcc
	v_cmp_ne_u32_e32 vcc, 0, v11
	v_lshrrev_b32_e32 v23, v14, v20
	v_lshlrev_b32_e32 v5, v5, v22
	v_lshl_or_b32 v21, v16, 12, v11
	v_cndmask_b32_e64 v11, 0, 1, vcc
	v_lshlrev_b32_e32 v14, v14, v23
	v_cmp_ne_u32_e32 vcc, v5, v18
	v_cndmask_b32_e64 v5, 0, 1, vcc
	v_cmp_ne_u32_e32 vcc, v14, v20
	v_cndmask_b32_e64 v14, 0, 1, vcc
	v_or_b32_e32 v5, v22, v5
	v_cmp_gt_i32_e32 vcc, 1, v7
	v_cndmask_b32_e32 v5, v19, v5, vcc
	v_or_b32_e32 v14, v23, v14
	v_cmp_gt_i32_e32 vcc, 1, v16
	v_and_b32_e32 v18, 7, v5
	v_cndmask_b32_e32 v14, v21, v14, vcc
	v_cmp_lt_i32_e32 vcc, 5, v18
	v_cmp_eq_u32_e64 s[0:1], 3, v18
	v_lshrrev_b32_e32 v5, 2, v5
	v_and_b32_e32 v19, 7, v14
	s_or_b64 vcc, s[0:1], vcc
	v_cmp_lt_i32_e64 s[2:3], 5, v19
	v_cmp_eq_u32_e64 s[4:5], 3, v19
	v_addc_co_u32_e32 v5, vcc, 0, v5, vcc
	v_lshrrev_b32_e32 v14, 2, v14
	s_or_b64 vcc, s[4:5], s[2:3]
	v_addc_co_u32_e32 v14, vcc, 0, v14, vcc
	v_cmp_gt_i32_e32 vcc, 31, v7
	v_cndmask_b32_e32 v5, v2, v5, vcc
	v_cmp_gt_i32_e32 vcc, 31, v16
	v_lshl_or_b32 v1, v1, 9, v2
	v_cndmask_b32_e32 v14, v2, v14, vcc
	v_cmp_eq_u32_e32 vcc, s11, v7
	v_lshrrev_b32_e32 v8, 16, v8
	v_lshl_or_b32 v11, v11, 9, v2
	v_cndmask_b32_e32 v1, v5, v1, vcc
	v_cmp_eq_u32_e32 vcc, s11, v16
	v_lshrrev_b32_e32 v17, 16, v17
	v_cndmask_b32_e32 v5, v14, v11, vcc
	v_and_or_b32 v1, v8, s14, v1
	v_and_or_b32 v5, v17, s14, v5
	v_and_b32_e32 v1, 0xffff, v1
	v_lshl_or_b32 v1, v5, 16, v1
	global_store_dword v[9:10], v1, off
	global_load_dword v5, v[12:13], off offset:320
	v_or_b32_e32 v11, 0x50, v66
	v_mad_u64_u32 v[7:8], s[0:1], s8, v11, 0
	v_lshrrev_b32_e32 v14, 16, v6
	v_mov_b32_e32 v1, v8
	v_mad_u64_u32 v[16:17], s[0:1], s9, v11, v[1:2]
	s_waitcnt vmcnt(0)
	v_mul_f16_sdwa v8, v14, v5 dst_sel:DWORD dst_unused:UNUSED_PAD src0_sel:DWORD src1_sel:WORD_1
	v_fma_f16 v8, v6, v5, v8
	v_mul_f16_sdwa v6, v6, v5 dst_sel:DWORD dst_unused:UNUSED_PAD src0_sel:DWORD src1_sel:WORD_1
	v_cvt_f32_f16_e32 v8, v8
	v_fma_f16 v5, v5, v14, -v6
	v_cvt_f32_f16_e32 v14, v5
	v_cvt_f64_f32_e32 v[5:6], v8
	v_mov_b32_e32 v8, v16
	v_cvt_f64_f32_e32 v[17:18], v14
	v_lshlrev_b64 v[7:8], 2, v[7:8]
	v_mul_f64 v[5:6], v[5:6], s[12:13]
	v_add_co_u32_e32 v7, vcc, v3, v7
	v_mul_f64 v[16:17], v[17:18], s[12:13]
	v_addc_co_u32_e32 v8, vcc, v4, v8, vcc
	v_and_or_b32 v1, v6, s15, v5
	v_cmp_ne_u32_e32 vcc, 0, v1
	v_lshrrev_b32_e32 v5, 8, v6
	v_and_or_b32 v14, v17, s15, v16
	v_bfe_u32 v11, v6, 20, 11
	v_cndmask_b32_e64 v1, 0, 1, vcc
	v_cmp_ne_u32_e32 vcc, 0, v14
	v_lshrrev_b32_e32 v16, 8, v17
	v_bfe_u32 v18, v17, 20, 11
	v_sub_u32_e32 v19, 0x3f1, v11
	v_cndmask_b32_e64 v14, 0, 1, vcc
	v_and_or_b32 v1, v5, s10, v1
	v_sub_u32_e32 v20, 0x3f1, v18
	v_med3_i32 v5, v19, 0, 13
	v_and_or_b32 v14, v16, s10, v14
	v_or_b32_e32 v19, 0x1000, v1
	v_add_u32_e32 v11, 0xfffffc10, v11
	v_med3_i32 v16, v20, 0, 13
	v_cmp_ne_u32_e32 vcc, 0, v1
	v_or_b32_e32 v21, 0x1000, v14
	v_lshrrev_b32_e32 v23, v5, v19
	v_add_u32_e32 v18, 0xfffffc10, v18
	v_lshl_or_b32 v20, v11, 12, v1
	v_cndmask_b32_e64 v1, 0, 1, vcc
	v_cmp_ne_u32_e32 vcc, 0, v14
	v_lshrrev_b32_e32 v24, v16, v21
	v_lshlrev_b32_e32 v5, v5, v23
	v_lshl_or_b32 v22, v18, 12, v14
	v_cndmask_b32_e64 v14, 0, 1, vcc
	v_lshlrev_b32_e32 v16, v16, v24
	v_cmp_ne_u32_e32 vcc, v5, v19
	v_cndmask_b32_e64 v5, 0, 1, vcc
	v_cmp_ne_u32_e32 vcc, v16, v21
	v_cndmask_b32_e64 v16, 0, 1, vcc
	v_or_b32_e32 v5, v23, v5
	v_cmp_gt_i32_e32 vcc, 1, v11
	v_cndmask_b32_e32 v5, v20, v5, vcc
	v_or_b32_e32 v16, v24, v16
	v_cmp_gt_i32_e32 vcc, 1, v18
	v_and_b32_e32 v19, 7, v5
	v_cndmask_b32_e32 v16, v22, v16, vcc
	v_cmp_lt_i32_e32 vcc, 5, v19
	v_cmp_eq_u32_e64 s[0:1], 3, v19
	v_lshrrev_b32_e32 v5, 2, v5
	v_and_b32_e32 v20, 7, v16
	s_or_b64 vcc, s[0:1], vcc
	v_cmp_lt_i32_e64 s[2:3], 5, v20
	v_cmp_eq_u32_e64 s[4:5], 3, v20
	v_addc_co_u32_e32 v5, vcc, 0, v5, vcc
	v_lshrrev_b32_e32 v16, 2, v16
	s_or_b64 vcc, s[4:5], s[2:3]
	v_addc_co_u32_e32 v16, vcc, 0, v16, vcc
	v_cmp_gt_i32_e32 vcc, 31, v11
	v_cndmask_b32_e32 v5, v2, v5, vcc
	v_cmp_gt_i32_e32 vcc, 31, v18
	v_lshl_or_b32 v1, v1, 9, v2
	v_cndmask_b32_e32 v16, v2, v16, vcc
	v_cmp_eq_u32_e32 vcc, s11, v11
	v_lshrrev_b32_e32 v6, 16, v6
	v_lshl_or_b32 v14, v14, 9, v2
	v_cndmask_b32_e32 v1, v5, v1, vcc
	v_cmp_eq_u32_e32 vcc, s11, v18
	v_lshrrev_b32_e32 v17, 16, v17
	v_cndmask_b32_e32 v5, v16, v14, vcc
	v_and_or_b32 v1, v6, s14, v1
	v_and_or_b32 v5, v17, s14, v5
	v_and_b32_e32 v1, 0xffff, v1
	v_lshl_or_b32 v1, v5, 16, v1
	global_store_dword v[7:8], v1, off
	global_load_dword v1, v[12:13], off offset:404
	ds_read2_b32 v[5:6], v65 offset0:101 offset1:122
	s_mul_i32 s0, s9, 0xa8
	s_add_i32 s16, s16, s0
	v_add_co_u32_e32 v9, vcc, s7, v9
	s_waitcnt lgkmcnt(0)
	v_lshrrev_b32_e32 v7, 16, v5
	s_waitcnt vmcnt(0)
	v_mul_f16_sdwa v8, v7, v1 dst_sel:DWORD dst_unused:UNUSED_PAD src0_sel:DWORD src1_sel:WORD_1
	v_fma_f16 v8, v5, v1, v8
	v_mul_f16_sdwa v5, v5, v1 dst_sel:DWORD dst_unused:UNUSED_PAD src0_sel:DWORD src1_sel:WORD_1
	v_cvt_f32_f16_e32 v8, v8
	v_fma_f16 v1, v1, v7, -v5
	v_cvt_f32_f16_e32 v1, v1
	v_cvt_f64_f32_e32 v[7:8], v8
	v_cvt_f64_f32_e32 v[16:17], v1
	v_mov_b32_e32 v1, s16
	v_mul_f64 v[7:8], v[7:8], s[12:13]
	v_addc_co_u32_e32 v10, vcc, v10, v1, vcc
	v_mul_f64 v[16:17], v[16:17], s[12:13]
	v_and_or_b32 v1, v8, s15, v7
	v_cmp_ne_u32_e32 vcc, 0, v1
	v_lshrrev_b32_e32 v5, 8, v8
	v_and_or_b32 v11, v17, s15, v16
	v_bfe_u32 v7, v8, 20, 11
	v_cndmask_b32_e64 v1, 0, 1, vcc
	v_cmp_ne_u32_e32 vcc, 0, v11
	v_lshrrev_b32_e32 v14, 8, v17
	v_bfe_u32 v16, v17, 20, 11
	v_sub_u32_e32 v18, 0x3f1, v7
	v_cndmask_b32_e64 v11, 0, 1, vcc
	v_and_or_b32 v1, v5, s10, v1
	v_sub_u32_e32 v19, 0x3f1, v16
	v_med3_i32 v5, v18, 0, 13
	v_and_or_b32 v11, v14, s10, v11
	v_or_b32_e32 v18, 0x1000, v1
	v_add_u32_e32 v7, 0xfffffc10, v7
	v_med3_i32 v14, v19, 0, 13
	v_cmp_ne_u32_e32 vcc, 0, v1
	v_or_b32_e32 v20, 0x1000, v11
	v_lshrrev_b32_e32 v22, v5, v18
	v_add_u32_e32 v16, 0xfffffc10, v16
	v_lshl_or_b32 v19, v7, 12, v1
	v_cndmask_b32_e64 v1, 0, 1, vcc
	v_cmp_ne_u32_e32 vcc, 0, v11
	v_lshrrev_b32_e32 v23, v14, v20
	v_lshlrev_b32_e32 v5, v5, v22
	v_lshl_or_b32 v21, v16, 12, v11
	v_cndmask_b32_e64 v11, 0, 1, vcc
	v_lshlrev_b32_e32 v14, v14, v23
	v_cmp_ne_u32_e32 vcc, v5, v18
	v_cndmask_b32_e64 v5, 0, 1, vcc
	v_cmp_ne_u32_e32 vcc, v14, v20
	v_cndmask_b32_e64 v14, 0, 1, vcc
	v_or_b32_e32 v5, v22, v5
	v_cmp_gt_i32_e32 vcc, 1, v7
	v_cndmask_b32_e32 v5, v19, v5, vcc
	v_or_b32_e32 v14, v23, v14
	v_cmp_gt_i32_e32 vcc, 1, v16
	v_and_b32_e32 v18, 7, v5
	v_cndmask_b32_e32 v14, v21, v14, vcc
	v_cmp_lt_i32_e32 vcc, 5, v18
	v_cmp_eq_u32_e64 s[0:1], 3, v18
	v_lshrrev_b32_e32 v5, 2, v5
	v_and_b32_e32 v19, 7, v14
	s_or_b64 vcc, s[0:1], vcc
	v_cmp_lt_i32_e64 s[2:3], 5, v19
	v_cmp_eq_u32_e64 s[4:5], 3, v19
	v_addc_co_u32_e32 v5, vcc, 0, v5, vcc
	v_lshrrev_b32_e32 v14, 2, v14
	s_or_b64 vcc, s[4:5], s[2:3]
	v_addc_co_u32_e32 v14, vcc, 0, v14, vcc
	v_cmp_gt_i32_e32 vcc, 31, v7
	v_cndmask_b32_e32 v5, v2, v5, vcc
	v_cmp_gt_i32_e32 vcc, 31, v16
	v_lshl_or_b32 v1, v1, 9, v2
	v_cndmask_b32_e32 v14, v2, v14, vcc
	v_cmp_eq_u32_e32 vcc, s11, v7
	v_lshrrev_b32_e32 v8, 16, v8
	v_lshl_or_b32 v11, v11, 9, v2
	v_cndmask_b32_e32 v1, v5, v1, vcc
	v_cmp_eq_u32_e32 vcc, s11, v16
	v_lshrrev_b32_e32 v17, 16, v17
	v_cndmask_b32_e32 v5, v14, v11, vcc
	v_and_or_b32 v1, v8, s14, v1
	v_and_or_b32 v5, v17, s14, v5
	v_and_b32_e32 v1, 0xffff, v1
	v_lshl_or_b32 v1, v5, 16, v1
	global_store_dword v[9:10], v1, off
	global_load_dword v1, v[12:13], off offset:488
	v_lshrrev_b32_e32 v5, 16, v6
	v_add_co_u32_e32 v9, vcc, s6, v9
	v_addc_co_u32_e32 v10, vcc, v10, v0, vcc
	s_waitcnt vmcnt(0)
	v_mul_f16_sdwa v7, v5, v1 dst_sel:DWORD dst_unused:UNUSED_PAD src0_sel:DWORD src1_sel:WORD_1
	v_fma_f16 v7, v6, v1, v7
	v_mul_f16_sdwa v6, v6, v1 dst_sel:DWORD dst_unused:UNUSED_PAD src0_sel:DWORD src1_sel:WORD_1
	v_cvt_f32_f16_e32 v7, v7
	v_fma_f16 v1, v1, v5, -v6
	v_cvt_f32_f16_e32 v1, v1
	v_cvt_f64_f32_e32 v[5:6], v7
	v_cvt_f64_f32_e32 v[7:8], v1
	v_mul_f64 v[5:6], v[5:6], s[12:13]
	v_mul_f64 v[7:8], v[7:8], s[12:13]
	v_and_or_b32 v1, v6, s15, v5
	v_cmp_ne_u32_e32 vcc, 0, v1
	v_and_or_b32 v7, v8, s15, v7
	v_lshrrev_b32_e32 v5, 8, v6
	v_bfe_u32 v11, v6, 20, 11
	v_cndmask_b32_e64 v1, 0, 1, vcc
	v_cmp_ne_u32_e32 vcc, 0, v7
	v_lshrrev_b32_e32 v14, 8, v8
	v_bfe_u32 v16, v8, 20, 11
	v_sub_u32_e32 v17, 0x3f1, v11
	v_cndmask_b32_e64 v7, 0, 1, vcc
	v_and_or_b32 v1, v5, s10, v1
	v_sub_u32_e32 v18, 0x3f1, v16
	v_med3_i32 v5, v17, 0, 13
	v_and_or_b32 v7, v14, s10, v7
	v_or_b32_e32 v17, 0x1000, v1
	v_add_u32_e32 v11, 0xfffffc10, v11
	v_med3_i32 v14, v18, 0, 13
	v_cmp_ne_u32_e32 vcc, 0, v1
	v_or_b32_e32 v19, 0x1000, v7
	v_lshrrev_b32_e32 v21, v5, v17
	v_add_u32_e32 v16, 0xfffffc10, v16
	v_lshl_or_b32 v18, v11, 12, v1
	v_cndmask_b32_e64 v1, 0, 1, vcc
	v_cmp_ne_u32_e32 vcc, 0, v7
	v_lshrrev_b32_e32 v22, v14, v19
	v_lshlrev_b32_e32 v5, v5, v21
	v_lshl_or_b32 v20, v16, 12, v7
	v_cndmask_b32_e64 v7, 0, 1, vcc
	v_lshlrev_b32_e32 v14, v14, v22
	v_cmp_ne_u32_e32 vcc, v5, v17
	v_cndmask_b32_e64 v5, 0, 1, vcc
	v_cmp_ne_u32_e32 vcc, v14, v19
	v_cndmask_b32_e64 v14, 0, 1, vcc
	v_or_b32_e32 v5, v21, v5
	v_cmp_gt_i32_e32 vcc, 1, v11
	v_cndmask_b32_e32 v5, v18, v5, vcc
	v_or_b32_e32 v14, v22, v14
	v_cmp_gt_i32_e32 vcc, 1, v16
	v_and_b32_e32 v17, 7, v5
	v_cndmask_b32_e32 v14, v20, v14, vcc
	v_cmp_lt_i32_e32 vcc, 5, v17
	v_cmp_eq_u32_e64 s[0:1], 3, v17
	v_lshrrev_b32_e32 v5, 2, v5
	v_and_b32_e32 v18, 7, v14
	s_or_b64 vcc, s[0:1], vcc
	v_cmp_lt_i32_e64 s[2:3], 5, v18
	v_cmp_eq_u32_e64 s[4:5], 3, v18
	v_addc_co_u32_e32 v5, vcc, 0, v5, vcc
	v_lshrrev_b32_e32 v14, 2, v14
	s_or_b64 vcc, s[4:5], s[2:3]
	v_addc_co_u32_e32 v14, vcc, 0, v14, vcc
	v_cmp_gt_i32_e32 vcc, 31, v11
	v_cndmask_b32_e32 v5, v2, v5, vcc
	v_cmp_gt_i32_e32 vcc, 31, v16
	v_lshl_or_b32 v1, v1, 9, v2
	v_cndmask_b32_e32 v14, v2, v14, vcc
	v_cmp_eq_u32_e32 vcc, s11, v11
	v_lshrrev_b32_e32 v6, 16, v6
	v_lshl_or_b32 v7, v7, 9, v2
	v_cndmask_b32_e32 v1, v5, v1, vcc
	v_cmp_eq_u32_e32 vcc, s11, v16
	v_lshrrev_b32_e32 v8, 16, v8
	v_cndmask_b32_e32 v5, v14, v7, vcc
	v_and_or_b32 v1, v6, s14, v1
	v_and_or_b32 v5, v8, s14, v5
	v_and_b32_e32 v1, 0xffff, v1
	v_lshl_or_b32 v1, v5, 16, v1
	global_store_dword v[9:10], v1, off
	global_load_dword v1, v[12:13], off offset:572
	ds_read2_b32 v[5:6], v65 offset0:143 offset1:164
	v_add_co_u32_e32 v9, vcc, s6, v9
	v_addc_co_u32_e32 v10, vcc, v10, v0, vcc
	s_waitcnt lgkmcnt(0)
	v_lshrrev_b32_e32 v7, 16, v5
	s_waitcnt vmcnt(0)
	v_mul_f16_sdwa v8, v7, v1 dst_sel:DWORD dst_unused:UNUSED_PAD src0_sel:DWORD src1_sel:WORD_1
	v_fma_f16 v8, v5, v1, v8
	v_mul_f16_sdwa v5, v5, v1 dst_sel:DWORD dst_unused:UNUSED_PAD src0_sel:DWORD src1_sel:WORD_1
	v_cvt_f32_f16_e32 v8, v8
	v_fma_f16 v1, v1, v7, -v5
	v_cvt_f32_f16_e32 v1, v1
	v_cvt_f64_f32_e32 v[7:8], v8
	v_cvt_f64_f32_e32 v[16:17], v1
	v_mul_f64 v[7:8], v[7:8], s[12:13]
	v_mul_f64 v[16:17], v[16:17], s[12:13]
	v_and_or_b32 v1, v8, s15, v7
	v_cmp_ne_u32_e32 vcc, 0, v1
	v_and_or_b32 v11, v17, s15, v16
	v_lshrrev_b32_e32 v5, 8, v8
	v_bfe_u32 v7, v8, 20, 11
	v_cndmask_b32_e64 v1, 0, 1, vcc
	v_cmp_ne_u32_e32 vcc, 0, v11
	v_lshrrev_b32_e32 v14, 8, v17
	v_bfe_u32 v16, v17, 20, 11
	v_sub_u32_e32 v18, 0x3f1, v7
	v_cndmask_b32_e64 v11, 0, 1, vcc
	v_and_or_b32 v1, v5, s10, v1
	v_sub_u32_e32 v19, 0x3f1, v16
	v_med3_i32 v5, v18, 0, 13
	v_and_or_b32 v11, v14, s10, v11
	v_or_b32_e32 v18, 0x1000, v1
	v_add_u32_e32 v7, 0xfffffc10, v7
	v_med3_i32 v14, v19, 0, 13
	v_cmp_ne_u32_e32 vcc, 0, v1
	v_or_b32_e32 v20, 0x1000, v11
	v_lshrrev_b32_e32 v22, v5, v18
	v_add_u32_e32 v16, 0xfffffc10, v16
	v_lshl_or_b32 v19, v7, 12, v1
	v_cndmask_b32_e64 v1, 0, 1, vcc
	v_cmp_ne_u32_e32 vcc, 0, v11
	v_lshrrev_b32_e32 v23, v14, v20
	v_lshlrev_b32_e32 v5, v5, v22
	v_lshl_or_b32 v21, v16, 12, v11
	v_cndmask_b32_e64 v11, 0, 1, vcc
	v_lshlrev_b32_e32 v14, v14, v23
	v_cmp_ne_u32_e32 vcc, v5, v18
	v_cndmask_b32_e64 v5, 0, 1, vcc
	v_cmp_ne_u32_e32 vcc, v14, v20
	v_cndmask_b32_e64 v14, 0, 1, vcc
	v_or_b32_e32 v5, v22, v5
	v_cmp_gt_i32_e32 vcc, 1, v7
	v_cndmask_b32_e32 v5, v19, v5, vcc
	v_or_b32_e32 v14, v23, v14
	v_cmp_gt_i32_e32 vcc, 1, v16
	v_and_b32_e32 v18, 7, v5
	v_cndmask_b32_e32 v14, v21, v14, vcc
	v_cmp_lt_i32_e32 vcc, 5, v18
	v_cmp_eq_u32_e64 s[0:1], 3, v18
	v_lshrrev_b32_e32 v5, 2, v5
	v_and_b32_e32 v19, 7, v14
	s_or_b64 vcc, s[0:1], vcc
	v_cmp_lt_i32_e64 s[2:3], 5, v19
	v_cmp_eq_u32_e64 s[4:5], 3, v19
	v_addc_co_u32_e32 v5, vcc, 0, v5, vcc
	v_lshrrev_b32_e32 v14, 2, v14
	s_or_b64 vcc, s[4:5], s[2:3]
	v_addc_co_u32_e32 v14, vcc, 0, v14, vcc
	v_cmp_gt_i32_e32 vcc, 31, v7
	v_cndmask_b32_e32 v5, v2, v5, vcc
	v_cmp_gt_i32_e32 vcc, 31, v16
	v_lshl_or_b32 v1, v1, 9, v2
	v_cndmask_b32_e32 v14, v2, v14, vcc
	v_cmp_eq_u32_e32 vcc, s11, v7
	v_lshrrev_b32_e32 v8, 16, v8
	v_lshl_or_b32 v11, v11, 9, v2
	v_cndmask_b32_e32 v1, v5, v1, vcc
	v_cmp_eq_u32_e32 vcc, s11, v16
	v_lshrrev_b32_e32 v17, 16, v17
	v_cndmask_b32_e32 v5, v14, v11, vcc
	v_and_or_b32 v1, v8, s14, v1
	v_and_or_b32 v5, v17, s14, v5
	v_and_b32_e32 v1, 0xffff, v1
	v_lshl_or_b32 v1, v5, 16, v1
	global_store_dword v[9:10], v1, off
	global_load_dword v5, v[12:13], off offset:656
	v_or_b32_e32 v11, 0xa4, v66
	v_mad_u64_u32 v[7:8], s[0:1], s8, v11, 0
	v_lshrrev_b32_e32 v14, 16, v6
	v_mov_b32_e32 v1, v8
	v_mad_u64_u32 v[16:17], s[0:1], s9, v11, v[1:2]
	s_waitcnt vmcnt(0)
	v_mul_f16_sdwa v8, v14, v5 dst_sel:DWORD dst_unused:UNUSED_PAD src0_sel:DWORD src1_sel:WORD_1
	v_fma_f16 v8, v6, v5, v8
	v_mul_f16_sdwa v6, v6, v5 dst_sel:DWORD dst_unused:UNUSED_PAD src0_sel:DWORD src1_sel:WORD_1
	v_cvt_f32_f16_e32 v8, v8
	v_fma_f16 v5, v5, v14, -v6
	v_cvt_f32_f16_e32 v14, v5
	v_cvt_f64_f32_e32 v[5:6], v8
	v_mov_b32_e32 v8, v16
	v_cvt_f64_f32_e32 v[17:18], v14
	v_lshlrev_b64 v[7:8], 2, v[7:8]
	v_mul_f64 v[5:6], v[5:6], s[12:13]
	v_add_co_u32_e32 v7, vcc, v3, v7
	v_mul_f64 v[16:17], v[17:18], s[12:13]
	v_addc_co_u32_e32 v8, vcc, v4, v8, vcc
	v_and_or_b32 v1, v6, s15, v5
	v_cmp_ne_u32_e32 vcc, 0, v1
	v_lshrrev_b32_e32 v5, 8, v6
	v_and_or_b32 v14, v17, s15, v16
	v_bfe_u32 v11, v6, 20, 11
	v_cndmask_b32_e64 v1, 0, 1, vcc
	v_cmp_ne_u32_e32 vcc, 0, v14
	v_lshrrev_b32_e32 v16, 8, v17
	v_bfe_u32 v18, v17, 20, 11
	v_sub_u32_e32 v19, 0x3f1, v11
	v_cndmask_b32_e64 v14, 0, 1, vcc
	v_and_or_b32 v1, v5, s10, v1
	v_sub_u32_e32 v20, 0x3f1, v18
	v_med3_i32 v5, v19, 0, 13
	v_and_or_b32 v14, v16, s10, v14
	v_or_b32_e32 v19, 0x1000, v1
	v_add_u32_e32 v11, 0xfffffc10, v11
	v_med3_i32 v16, v20, 0, 13
	v_cmp_ne_u32_e32 vcc, 0, v1
	v_or_b32_e32 v21, 0x1000, v14
	v_lshrrev_b32_e32 v23, v5, v19
	v_add_u32_e32 v18, 0xfffffc10, v18
	v_lshl_or_b32 v20, v11, 12, v1
	v_cndmask_b32_e64 v1, 0, 1, vcc
	v_cmp_ne_u32_e32 vcc, 0, v14
	v_lshrrev_b32_e32 v24, v16, v21
	v_lshlrev_b32_e32 v5, v5, v23
	v_lshl_or_b32 v22, v18, 12, v14
	v_cndmask_b32_e64 v14, 0, 1, vcc
	v_lshlrev_b32_e32 v16, v16, v24
	v_cmp_ne_u32_e32 vcc, v5, v19
	v_cndmask_b32_e64 v5, 0, 1, vcc
	v_cmp_ne_u32_e32 vcc, v16, v21
	v_cndmask_b32_e64 v16, 0, 1, vcc
	v_or_b32_e32 v5, v23, v5
	v_cmp_gt_i32_e32 vcc, 1, v11
	v_cndmask_b32_e32 v5, v20, v5, vcc
	v_or_b32_e32 v16, v24, v16
	v_cmp_gt_i32_e32 vcc, 1, v18
	v_and_b32_e32 v19, 7, v5
	v_cndmask_b32_e32 v16, v22, v16, vcc
	v_cmp_lt_i32_e32 vcc, 5, v19
	v_cmp_eq_u32_e64 s[0:1], 3, v19
	v_lshrrev_b32_e32 v5, 2, v5
	v_and_b32_e32 v20, 7, v16
	s_or_b64 vcc, s[0:1], vcc
	v_cmp_lt_i32_e64 s[2:3], 5, v20
	v_cmp_eq_u32_e64 s[4:5], 3, v20
	v_addc_co_u32_e32 v5, vcc, 0, v5, vcc
	v_lshrrev_b32_e32 v16, 2, v16
	s_or_b64 vcc, s[4:5], s[2:3]
	v_addc_co_u32_e32 v16, vcc, 0, v16, vcc
	v_cmp_gt_i32_e32 vcc, 31, v11
	v_cndmask_b32_e32 v5, v2, v5, vcc
	v_cmp_gt_i32_e32 vcc, 31, v18
	v_lshl_or_b32 v1, v1, 9, v2
	v_cndmask_b32_e32 v16, v2, v16, vcc
	v_cmp_eq_u32_e32 vcc, s11, v11
	v_lshrrev_b32_e32 v6, 16, v6
	v_lshl_or_b32 v14, v14, 9, v2
	v_cndmask_b32_e32 v1, v5, v1, vcc
	v_cmp_eq_u32_e32 vcc, s11, v18
	v_lshrrev_b32_e32 v17, 16, v17
	v_cndmask_b32_e32 v5, v16, v14, vcc
	v_and_or_b32 v1, v6, s14, v1
	v_and_or_b32 v5, v17, s14, v5
	v_and_b32_e32 v1, 0xffff, v1
	v_lshl_or_b32 v1, v5, 16, v1
	global_store_dword v[7:8], v1, off
	global_load_dword v1, v[12:13], off offset:740
	ds_read2_b32 v[5:6], v65 offset0:185 offset1:206
	v_add_co_u32_e32 v9, vcc, s7, v9
	s_waitcnt lgkmcnt(0)
	v_lshrrev_b32_e32 v7, 16, v5
	s_waitcnt vmcnt(0)
	v_mul_f16_sdwa v8, v7, v1 dst_sel:DWORD dst_unused:UNUSED_PAD src0_sel:DWORD src1_sel:WORD_1
	v_fma_f16 v8, v5, v1, v8
	v_mul_f16_sdwa v5, v5, v1 dst_sel:DWORD dst_unused:UNUSED_PAD src0_sel:DWORD src1_sel:WORD_1
	v_cvt_f32_f16_e32 v8, v8
	v_fma_f16 v1, v1, v7, -v5
	v_cvt_f32_f16_e32 v1, v1
	v_cvt_f64_f32_e32 v[7:8], v8
	v_cvt_f64_f32_e32 v[16:17], v1
	v_mov_b32_e32 v1, s16
	v_mul_f64 v[7:8], v[7:8], s[12:13]
	v_addc_co_u32_e32 v10, vcc, v10, v1, vcc
	v_mul_f64 v[16:17], v[16:17], s[12:13]
	v_and_or_b32 v1, v8, s15, v7
	v_cmp_ne_u32_e32 vcc, 0, v1
	v_lshrrev_b32_e32 v5, 8, v8
	v_and_or_b32 v11, v17, s15, v16
	v_bfe_u32 v7, v8, 20, 11
	v_cndmask_b32_e64 v1, 0, 1, vcc
	v_cmp_ne_u32_e32 vcc, 0, v11
	v_lshrrev_b32_e32 v14, 8, v17
	v_bfe_u32 v16, v17, 20, 11
	v_sub_u32_e32 v18, 0x3f1, v7
	v_cndmask_b32_e64 v11, 0, 1, vcc
	v_and_or_b32 v1, v5, s10, v1
	v_sub_u32_e32 v19, 0x3f1, v16
	v_med3_i32 v5, v18, 0, 13
	v_and_or_b32 v11, v14, s10, v11
	v_or_b32_e32 v18, 0x1000, v1
	v_add_u32_e32 v7, 0xfffffc10, v7
	v_med3_i32 v14, v19, 0, 13
	v_cmp_ne_u32_e32 vcc, 0, v1
	v_or_b32_e32 v20, 0x1000, v11
	v_lshrrev_b32_e32 v22, v5, v18
	v_add_u32_e32 v16, 0xfffffc10, v16
	v_lshl_or_b32 v19, v7, 12, v1
	v_cndmask_b32_e64 v1, 0, 1, vcc
	v_cmp_ne_u32_e32 vcc, 0, v11
	v_lshrrev_b32_e32 v23, v14, v20
	v_lshlrev_b32_e32 v5, v5, v22
	v_lshl_or_b32 v21, v16, 12, v11
	v_cndmask_b32_e64 v11, 0, 1, vcc
	v_lshlrev_b32_e32 v14, v14, v23
	v_cmp_ne_u32_e32 vcc, v5, v18
	v_cndmask_b32_e64 v5, 0, 1, vcc
	v_cmp_ne_u32_e32 vcc, v14, v20
	v_cndmask_b32_e64 v14, 0, 1, vcc
	v_or_b32_e32 v5, v22, v5
	v_cmp_gt_i32_e32 vcc, 1, v7
	v_cndmask_b32_e32 v5, v19, v5, vcc
	v_or_b32_e32 v14, v23, v14
	v_cmp_gt_i32_e32 vcc, 1, v16
	v_and_b32_e32 v18, 7, v5
	v_cndmask_b32_e32 v14, v21, v14, vcc
	v_cmp_lt_i32_e32 vcc, 5, v18
	v_cmp_eq_u32_e64 s[0:1], 3, v18
	v_lshrrev_b32_e32 v5, 2, v5
	v_and_b32_e32 v19, 7, v14
	s_or_b64 vcc, s[0:1], vcc
	v_cmp_lt_i32_e64 s[2:3], 5, v19
	v_cmp_eq_u32_e64 s[4:5], 3, v19
	v_addc_co_u32_e32 v5, vcc, 0, v5, vcc
	v_lshrrev_b32_e32 v14, 2, v14
	s_or_b64 vcc, s[4:5], s[2:3]
	v_addc_co_u32_e32 v14, vcc, 0, v14, vcc
	v_cmp_gt_i32_e32 vcc, 31, v7
	v_cndmask_b32_e32 v5, v2, v5, vcc
	v_cmp_gt_i32_e32 vcc, 31, v16
	v_lshl_or_b32 v1, v1, 9, v2
	v_cndmask_b32_e32 v14, v2, v14, vcc
	v_cmp_eq_u32_e32 vcc, s11, v7
	v_lshrrev_b32_e32 v8, 16, v8
	v_lshl_or_b32 v11, v11, 9, v2
	v_cndmask_b32_e32 v1, v5, v1, vcc
	v_cmp_eq_u32_e32 vcc, s11, v16
	v_lshrrev_b32_e32 v17, 16, v17
	v_cndmask_b32_e32 v5, v14, v11, vcc
	v_and_or_b32 v1, v8, s14, v1
	v_and_or_b32 v5, v17, s14, v5
	v_and_b32_e32 v1, 0xffff, v1
	v_lshl_or_b32 v1, v5, 16, v1
	global_store_dword v[9:10], v1, off
	global_load_dword v1, v[12:13], off offset:824
	v_lshrrev_b32_e32 v5, 16, v6
	v_add_co_u32_e32 v9, vcc, s6, v9
	v_addc_co_u32_e32 v10, vcc, v10, v0, vcc
	s_waitcnt vmcnt(0)
	v_mul_f16_sdwa v7, v5, v1 dst_sel:DWORD dst_unused:UNUSED_PAD src0_sel:DWORD src1_sel:WORD_1
	v_fma_f16 v7, v6, v1, v7
	v_mul_f16_sdwa v6, v6, v1 dst_sel:DWORD dst_unused:UNUSED_PAD src0_sel:DWORD src1_sel:WORD_1
	v_cvt_f32_f16_e32 v7, v7
	v_fma_f16 v1, v1, v5, -v6
	v_cvt_f32_f16_e32 v1, v1
	v_cvt_f64_f32_e32 v[5:6], v7
	v_cvt_f64_f32_e32 v[7:8], v1
	v_mul_f64 v[5:6], v[5:6], s[12:13]
	v_mul_f64 v[7:8], v[7:8], s[12:13]
	v_and_or_b32 v1, v6, s15, v5
	v_cmp_ne_u32_e32 vcc, 0, v1
	v_and_or_b32 v7, v8, s15, v7
	v_lshrrev_b32_e32 v5, 8, v6
	v_bfe_u32 v11, v6, 20, 11
	v_cndmask_b32_e64 v1, 0, 1, vcc
	v_cmp_ne_u32_e32 vcc, 0, v7
	v_lshrrev_b32_e32 v14, 8, v8
	v_bfe_u32 v16, v8, 20, 11
	v_sub_u32_e32 v17, 0x3f1, v11
	v_cndmask_b32_e64 v7, 0, 1, vcc
	v_and_or_b32 v1, v5, s10, v1
	v_sub_u32_e32 v18, 0x3f1, v16
	v_med3_i32 v5, v17, 0, 13
	v_and_or_b32 v7, v14, s10, v7
	v_or_b32_e32 v17, 0x1000, v1
	v_add_u32_e32 v11, 0xfffffc10, v11
	v_med3_i32 v14, v18, 0, 13
	v_cmp_ne_u32_e32 vcc, 0, v1
	v_or_b32_e32 v19, 0x1000, v7
	v_lshrrev_b32_e32 v21, v5, v17
	v_add_u32_e32 v16, 0xfffffc10, v16
	v_lshl_or_b32 v18, v11, 12, v1
	v_cndmask_b32_e64 v1, 0, 1, vcc
	v_cmp_ne_u32_e32 vcc, 0, v7
	v_lshrrev_b32_e32 v22, v14, v19
	v_lshlrev_b32_e32 v5, v5, v21
	v_lshl_or_b32 v20, v16, 12, v7
	v_cndmask_b32_e64 v7, 0, 1, vcc
	v_lshlrev_b32_e32 v14, v14, v22
	v_cmp_ne_u32_e32 vcc, v5, v17
	v_cndmask_b32_e64 v5, 0, 1, vcc
	v_cmp_ne_u32_e32 vcc, v14, v19
	v_cndmask_b32_e64 v14, 0, 1, vcc
	v_or_b32_e32 v5, v21, v5
	v_cmp_gt_i32_e32 vcc, 1, v11
	v_cndmask_b32_e32 v5, v18, v5, vcc
	v_or_b32_e32 v14, v22, v14
	v_cmp_gt_i32_e32 vcc, 1, v16
	v_and_b32_e32 v17, 7, v5
	v_cndmask_b32_e32 v14, v20, v14, vcc
	v_cmp_lt_i32_e32 vcc, 5, v17
	v_cmp_eq_u32_e64 s[0:1], 3, v17
	v_lshrrev_b32_e32 v5, 2, v5
	v_and_b32_e32 v18, 7, v14
	s_or_b64 vcc, s[0:1], vcc
	v_cmp_lt_i32_e64 s[2:3], 5, v18
	v_cmp_eq_u32_e64 s[4:5], 3, v18
	v_addc_co_u32_e32 v5, vcc, 0, v5, vcc
	v_lshrrev_b32_e32 v14, 2, v14
	s_or_b64 vcc, s[4:5], s[2:3]
	v_addc_co_u32_e32 v14, vcc, 0, v14, vcc
	v_cmp_gt_i32_e32 vcc, 31, v11
	v_cndmask_b32_e32 v5, v2, v5, vcc
	v_cmp_gt_i32_e32 vcc, 31, v16
	v_lshl_or_b32 v1, v1, 9, v2
	v_cndmask_b32_e32 v14, v2, v14, vcc
	v_cmp_eq_u32_e32 vcc, s11, v11
	v_lshrrev_b32_e32 v6, 16, v6
	v_lshl_or_b32 v7, v7, 9, v2
	v_cndmask_b32_e32 v1, v5, v1, vcc
	v_cmp_eq_u32_e32 vcc, s11, v16
	v_lshrrev_b32_e32 v8, 16, v8
	v_cndmask_b32_e32 v5, v14, v7, vcc
	v_and_or_b32 v1, v6, s14, v1
	v_and_or_b32 v5, v8, s14, v5
	v_and_b32_e32 v1, 0xffff, v1
	v_lshl_or_b32 v1, v5, 16, v1
	global_store_dword v[9:10], v1, off
	global_load_dword v1, v[12:13], off offset:908
	ds_read2_b32 v[5:6], v65 offset0:227 offset1:248
	v_add_co_u32_e32 v9, vcc, s6, v9
	v_addc_co_u32_e32 v10, vcc, v10, v0, vcc
	s_waitcnt lgkmcnt(0)
	v_lshrrev_b32_e32 v7, 16, v5
	s_waitcnt vmcnt(0)
	v_mul_f16_sdwa v8, v7, v1 dst_sel:DWORD dst_unused:UNUSED_PAD src0_sel:DWORD src1_sel:WORD_1
	v_fma_f16 v8, v5, v1, v8
	v_mul_f16_sdwa v5, v5, v1 dst_sel:DWORD dst_unused:UNUSED_PAD src0_sel:DWORD src1_sel:WORD_1
	v_cvt_f32_f16_e32 v8, v8
	v_fma_f16 v1, v1, v7, -v5
	v_cvt_f32_f16_e32 v1, v1
	v_cvt_f64_f32_e32 v[7:8], v8
	v_cvt_f64_f32_e32 v[16:17], v1
	v_mul_f64 v[7:8], v[7:8], s[12:13]
	v_mul_f64 v[16:17], v[16:17], s[12:13]
	v_and_or_b32 v1, v8, s15, v7
	v_cmp_ne_u32_e32 vcc, 0, v1
	v_and_or_b32 v11, v17, s15, v16
	v_lshrrev_b32_e32 v5, 8, v8
	v_bfe_u32 v7, v8, 20, 11
	v_cndmask_b32_e64 v1, 0, 1, vcc
	v_cmp_ne_u32_e32 vcc, 0, v11
	v_lshrrev_b32_e32 v14, 8, v17
	v_bfe_u32 v16, v17, 20, 11
	v_sub_u32_e32 v18, 0x3f1, v7
	v_cndmask_b32_e64 v11, 0, 1, vcc
	v_and_or_b32 v1, v5, s10, v1
	v_sub_u32_e32 v19, 0x3f1, v16
	v_med3_i32 v5, v18, 0, 13
	v_and_or_b32 v11, v14, s10, v11
	v_or_b32_e32 v18, 0x1000, v1
	v_add_u32_e32 v7, 0xfffffc10, v7
	v_med3_i32 v14, v19, 0, 13
	v_cmp_ne_u32_e32 vcc, 0, v1
	v_or_b32_e32 v20, 0x1000, v11
	v_lshrrev_b32_e32 v22, v5, v18
	v_add_u32_e32 v16, 0xfffffc10, v16
	v_lshl_or_b32 v19, v7, 12, v1
	v_cndmask_b32_e64 v1, 0, 1, vcc
	v_cmp_ne_u32_e32 vcc, 0, v11
	v_lshrrev_b32_e32 v23, v14, v20
	v_lshlrev_b32_e32 v5, v5, v22
	v_lshl_or_b32 v21, v16, 12, v11
	v_cndmask_b32_e64 v11, 0, 1, vcc
	v_lshlrev_b32_e32 v14, v14, v23
	v_cmp_ne_u32_e32 vcc, v5, v18
	v_cndmask_b32_e64 v5, 0, 1, vcc
	v_cmp_ne_u32_e32 vcc, v14, v20
	v_cndmask_b32_e64 v14, 0, 1, vcc
	v_or_b32_e32 v5, v22, v5
	v_cmp_gt_i32_e32 vcc, 1, v7
	v_cndmask_b32_e32 v5, v19, v5, vcc
	v_or_b32_e32 v14, v23, v14
	v_cmp_gt_i32_e32 vcc, 1, v16
	v_and_b32_e32 v18, 7, v5
	v_cndmask_b32_e32 v14, v21, v14, vcc
	v_cmp_lt_i32_e32 vcc, 5, v18
	v_cmp_eq_u32_e64 s[0:1], 3, v18
	v_lshrrev_b32_e32 v5, 2, v5
	v_and_b32_e32 v19, 7, v14
	s_or_b64 vcc, s[0:1], vcc
	v_cmp_lt_i32_e64 s[2:3], 5, v19
	v_cmp_eq_u32_e64 s[4:5], 3, v19
	v_addc_co_u32_e32 v5, vcc, 0, v5, vcc
	v_lshrrev_b32_e32 v14, 2, v14
	s_or_b64 vcc, s[4:5], s[2:3]
	v_addc_co_u32_e32 v14, vcc, 0, v14, vcc
	v_cmp_gt_i32_e32 vcc, 31, v7
	v_cndmask_b32_e32 v5, v2, v5, vcc
	v_cmp_gt_i32_e32 vcc, 31, v16
	v_lshl_or_b32 v1, v1, 9, v2
	v_cndmask_b32_e32 v14, v2, v14, vcc
	v_cmp_eq_u32_e32 vcc, s11, v7
	v_lshrrev_b32_e32 v8, 16, v8
	v_lshl_or_b32 v11, v11, 9, v2
	v_cndmask_b32_e32 v1, v5, v1, vcc
	v_cmp_eq_u32_e32 vcc, s11, v16
	v_lshrrev_b32_e32 v17, 16, v17
	v_cndmask_b32_e32 v5, v14, v11, vcc
	v_and_or_b32 v1, v8, s14, v1
	v_and_or_b32 v5, v17, s14, v5
	v_and_b32_e32 v1, 0xffff, v1
	v_lshl_or_b32 v1, v5, 16, v1
	global_store_dword v[9:10], v1, off
	global_load_dword v5, v[12:13], off offset:992
	v_or_b32_e32 v11, 0xf8, v66
	v_mad_u64_u32 v[7:8], s[0:1], s8, v11, 0
	v_lshrrev_b32_e32 v14, 16, v6
	v_mov_b32_e32 v1, v8
	v_mad_u64_u32 v[16:17], s[0:1], s9, v11, v[1:2]
	s_waitcnt vmcnt(0)
	v_mul_f16_sdwa v8, v14, v5 dst_sel:DWORD dst_unused:UNUSED_PAD src0_sel:DWORD src1_sel:WORD_1
	v_fma_f16 v8, v6, v5, v8
	v_mul_f16_sdwa v6, v6, v5 dst_sel:DWORD dst_unused:UNUSED_PAD src0_sel:DWORD src1_sel:WORD_1
	v_cvt_f32_f16_e32 v8, v8
	v_fma_f16 v5, v5, v14, -v6
	v_cvt_f32_f16_e32 v14, v5
	v_cvt_f64_f32_e32 v[5:6], v8
	v_mov_b32_e32 v8, v16
	v_cvt_f64_f32_e32 v[17:18], v14
	v_lshlrev_b64 v[7:8], 2, v[7:8]
	v_mul_f64 v[5:6], v[5:6], s[12:13]
	v_add_co_u32_e32 v7, vcc, v3, v7
	v_mul_f64 v[16:17], v[17:18], s[12:13]
	v_addc_co_u32_e32 v8, vcc, v4, v8, vcc
	v_and_or_b32 v1, v6, s15, v5
	v_cmp_ne_u32_e32 vcc, 0, v1
	v_lshrrev_b32_e32 v5, 8, v6
	v_and_or_b32 v14, v17, s15, v16
	v_bfe_u32 v11, v6, 20, 11
	v_cndmask_b32_e64 v1, 0, 1, vcc
	v_cmp_ne_u32_e32 vcc, 0, v14
	v_lshrrev_b32_e32 v16, 8, v17
	v_bfe_u32 v18, v17, 20, 11
	v_sub_u32_e32 v19, 0x3f1, v11
	v_cndmask_b32_e64 v14, 0, 1, vcc
	v_and_or_b32 v1, v5, s10, v1
	v_sub_u32_e32 v20, 0x3f1, v18
	v_med3_i32 v5, v19, 0, 13
	v_and_or_b32 v14, v16, s10, v14
	v_or_b32_e32 v19, 0x1000, v1
	v_add_u32_e32 v11, 0xfffffc10, v11
	v_med3_i32 v16, v20, 0, 13
	v_cmp_ne_u32_e32 vcc, 0, v1
	v_or_b32_e32 v21, 0x1000, v14
	v_lshrrev_b32_e32 v23, v5, v19
	v_add_u32_e32 v18, 0xfffffc10, v18
	v_lshl_or_b32 v20, v11, 12, v1
	v_cndmask_b32_e64 v1, 0, 1, vcc
	v_cmp_ne_u32_e32 vcc, 0, v14
	v_lshrrev_b32_e32 v24, v16, v21
	v_lshlrev_b32_e32 v5, v5, v23
	v_lshl_or_b32 v22, v18, 12, v14
	v_cndmask_b32_e64 v14, 0, 1, vcc
	v_lshlrev_b32_e32 v16, v16, v24
	v_cmp_ne_u32_e32 vcc, v5, v19
	v_cndmask_b32_e64 v5, 0, 1, vcc
	v_cmp_ne_u32_e32 vcc, v16, v21
	v_cndmask_b32_e64 v16, 0, 1, vcc
	v_or_b32_e32 v5, v23, v5
	v_cmp_gt_i32_e32 vcc, 1, v11
	v_cndmask_b32_e32 v5, v20, v5, vcc
	v_or_b32_e32 v16, v24, v16
	v_cmp_gt_i32_e32 vcc, 1, v18
	v_and_b32_e32 v19, 7, v5
	v_cndmask_b32_e32 v16, v22, v16, vcc
	v_cmp_lt_i32_e32 vcc, 5, v19
	v_cmp_eq_u32_e64 s[0:1], 3, v19
	v_lshrrev_b32_e32 v5, 2, v5
	v_and_b32_e32 v20, 7, v16
	s_or_b64 vcc, s[0:1], vcc
	v_cmp_lt_i32_e64 s[2:3], 5, v20
	v_cmp_eq_u32_e64 s[4:5], 3, v20
	v_addc_co_u32_e32 v5, vcc, 0, v5, vcc
	v_lshrrev_b32_e32 v16, 2, v16
	s_or_b64 vcc, s[4:5], s[2:3]
	v_addc_co_u32_e32 v16, vcc, 0, v16, vcc
	v_cmp_gt_i32_e32 vcc, 31, v11
	v_cndmask_b32_e32 v5, v2, v5, vcc
	v_cmp_gt_i32_e32 vcc, 31, v18
	v_lshl_or_b32 v1, v1, 9, v2
	v_cndmask_b32_e32 v16, v2, v16, vcc
	v_cmp_eq_u32_e32 vcc, s11, v11
	v_lshrrev_b32_e32 v6, 16, v6
	v_lshl_or_b32 v14, v14, 9, v2
	v_cndmask_b32_e32 v1, v5, v1, vcc
	v_cmp_eq_u32_e32 vcc, s11, v18
	v_lshrrev_b32_e32 v17, 16, v17
	v_cndmask_b32_e32 v5, v16, v14, vcc
	v_and_or_b32 v1, v6, s14, v1
	v_and_or_b32 v5, v17, s14, v5
	v_and_b32_e32 v1, 0xffff, v1
	v_lshl_or_b32 v1, v5, 16, v1
	global_store_dword v[7:8], v1, off
	global_load_dword v1, v[12:13], off offset:1076
	ds_read2_b32 v[5:6], v15 offset0:13 offset1:34
	v_add_co_u32_e32 v9, vcc, s7, v9
	s_waitcnt lgkmcnt(0)
	v_lshrrev_b32_e32 v7, 16, v5
	s_waitcnt vmcnt(0)
	v_mul_f16_sdwa v8, v7, v1 dst_sel:DWORD dst_unused:UNUSED_PAD src0_sel:DWORD src1_sel:WORD_1
	v_fma_f16 v8, v5, v1, v8
	v_mul_f16_sdwa v5, v5, v1 dst_sel:DWORD dst_unused:UNUSED_PAD src0_sel:DWORD src1_sel:WORD_1
	v_cvt_f32_f16_e32 v8, v8
	v_fma_f16 v1, v1, v7, -v5
	v_cvt_f32_f16_e32 v1, v1
	v_cvt_f64_f32_e32 v[7:8], v8
	v_cvt_f64_f32_e32 v[16:17], v1
	v_mov_b32_e32 v1, s16
	v_mul_f64 v[7:8], v[7:8], s[12:13]
	v_addc_co_u32_e32 v10, vcc, v10, v1, vcc
	v_mul_f64 v[16:17], v[16:17], s[12:13]
	v_and_or_b32 v1, v8, s15, v7
	v_cmp_ne_u32_e32 vcc, 0, v1
	v_lshrrev_b32_e32 v5, 8, v8
	v_and_or_b32 v11, v17, s15, v16
	v_bfe_u32 v7, v8, 20, 11
	v_cndmask_b32_e64 v1, 0, 1, vcc
	v_cmp_ne_u32_e32 vcc, 0, v11
	v_lshrrev_b32_e32 v14, 8, v17
	v_bfe_u32 v16, v17, 20, 11
	v_sub_u32_e32 v18, 0x3f1, v7
	v_cndmask_b32_e64 v11, 0, 1, vcc
	v_and_or_b32 v1, v5, s10, v1
	v_sub_u32_e32 v19, 0x3f1, v16
	v_med3_i32 v5, v18, 0, 13
	v_and_or_b32 v11, v14, s10, v11
	v_or_b32_e32 v18, 0x1000, v1
	v_add_u32_e32 v7, 0xfffffc10, v7
	v_med3_i32 v14, v19, 0, 13
	v_cmp_ne_u32_e32 vcc, 0, v1
	v_or_b32_e32 v20, 0x1000, v11
	v_lshrrev_b32_e32 v22, v5, v18
	v_add_u32_e32 v16, 0xfffffc10, v16
	v_lshl_or_b32 v19, v7, 12, v1
	v_cndmask_b32_e64 v1, 0, 1, vcc
	v_cmp_ne_u32_e32 vcc, 0, v11
	v_lshrrev_b32_e32 v23, v14, v20
	v_lshlrev_b32_e32 v5, v5, v22
	v_lshl_or_b32 v21, v16, 12, v11
	v_cndmask_b32_e64 v11, 0, 1, vcc
	v_lshlrev_b32_e32 v14, v14, v23
	v_cmp_ne_u32_e32 vcc, v5, v18
	v_cndmask_b32_e64 v5, 0, 1, vcc
	v_cmp_ne_u32_e32 vcc, v14, v20
	v_cndmask_b32_e64 v14, 0, 1, vcc
	v_or_b32_e32 v5, v22, v5
	v_cmp_gt_i32_e32 vcc, 1, v7
	v_cndmask_b32_e32 v5, v19, v5, vcc
	v_or_b32_e32 v14, v23, v14
	v_cmp_gt_i32_e32 vcc, 1, v16
	v_and_b32_e32 v18, 7, v5
	v_cndmask_b32_e32 v14, v21, v14, vcc
	v_cmp_lt_i32_e32 vcc, 5, v18
	v_cmp_eq_u32_e64 s[0:1], 3, v18
	v_lshrrev_b32_e32 v5, 2, v5
	v_and_b32_e32 v19, 7, v14
	s_or_b64 vcc, s[0:1], vcc
	v_cmp_lt_i32_e64 s[2:3], 5, v19
	v_cmp_eq_u32_e64 s[4:5], 3, v19
	v_addc_co_u32_e32 v5, vcc, 0, v5, vcc
	v_lshrrev_b32_e32 v14, 2, v14
	s_or_b64 vcc, s[4:5], s[2:3]
	v_addc_co_u32_e32 v14, vcc, 0, v14, vcc
	v_cmp_gt_i32_e32 vcc, 31, v7
	v_cndmask_b32_e32 v5, v2, v5, vcc
	v_cmp_gt_i32_e32 vcc, 31, v16
	v_lshl_or_b32 v1, v1, 9, v2
	v_cndmask_b32_e32 v14, v2, v14, vcc
	v_cmp_eq_u32_e32 vcc, s11, v7
	v_lshrrev_b32_e32 v8, 16, v8
	v_lshl_or_b32 v11, v11, 9, v2
	v_cndmask_b32_e32 v1, v5, v1, vcc
	v_cmp_eq_u32_e32 vcc, s11, v16
	v_lshrrev_b32_e32 v17, 16, v17
	v_cndmask_b32_e32 v5, v14, v11, vcc
	v_and_or_b32 v1, v8, s14, v1
	v_and_or_b32 v5, v17, s14, v5
	v_and_b32_e32 v1, 0xffff, v1
	v_lshl_or_b32 v1, v5, 16, v1
	global_store_dword v[9:10], v1, off
	global_load_dword v1, v[12:13], off offset:1160
	v_lshrrev_b32_e32 v5, 16, v6
	v_add_co_u32_e32 v9, vcc, s6, v9
	v_addc_co_u32_e32 v10, vcc, v10, v0, vcc
	s_waitcnt vmcnt(0)
	v_mul_f16_sdwa v7, v5, v1 dst_sel:DWORD dst_unused:UNUSED_PAD src0_sel:DWORD src1_sel:WORD_1
	v_fma_f16 v7, v6, v1, v7
	v_mul_f16_sdwa v6, v6, v1 dst_sel:DWORD dst_unused:UNUSED_PAD src0_sel:DWORD src1_sel:WORD_1
	v_cvt_f32_f16_e32 v7, v7
	v_fma_f16 v1, v1, v5, -v6
	v_cvt_f32_f16_e32 v1, v1
	v_cvt_f64_f32_e32 v[5:6], v7
	v_cvt_f64_f32_e32 v[7:8], v1
	v_mul_f64 v[5:6], v[5:6], s[12:13]
	v_mul_f64 v[7:8], v[7:8], s[12:13]
	v_and_or_b32 v1, v6, s15, v5
	v_cmp_ne_u32_e32 vcc, 0, v1
	v_and_or_b32 v7, v8, s15, v7
	v_lshrrev_b32_e32 v5, 8, v6
	v_bfe_u32 v11, v6, 20, 11
	v_cndmask_b32_e64 v1, 0, 1, vcc
	v_cmp_ne_u32_e32 vcc, 0, v7
	v_lshrrev_b32_e32 v14, 8, v8
	v_bfe_u32 v16, v8, 20, 11
	v_sub_u32_e32 v17, 0x3f1, v11
	v_cndmask_b32_e64 v7, 0, 1, vcc
	v_and_or_b32 v1, v5, s10, v1
	v_sub_u32_e32 v18, 0x3f1, v16
	v_med3_i32 v5, v17, 0, 13
	v_and_or_b32 v7, v14, s10, v7
	v_or_b32_e32 v17, 0x1000, v1
	v_add_u32_e32 v11, 0xfffffc10, v11
	v_med3_i32 v14, v18, 0, 13
	v_cmp_ne_u32_e32 vcc, 0, v1
	v_or_b32_e32 v19, 0x1000, v7
	v_lshrrev_b32_e32 v21, v5, v17
	v_add_u32_e32 v16, 0xfffffc10, v16
	v_lshl_or_b32 v18, v11, 12, v1
	v_cndmask_b32_e64 v1, 0, 1, vcc
	v_cmp_ne_u32_e32 vcc, 0, v7
	v_lshrrev_b32_e32 v22, v14, v19
	v_lshlrev_b32_e32 v5, v5, v21
	v_lshl_or_b32 v20, v16, 12, v7
	v_cndmask_b32_e64 v7, 0, 1, vcc
	v_lshlrev_b32_e32 v14, v14, v22
	v_cmp_ne_u32_e32 vcc, v5, v17
	v_cndmask_b32_e64 v5, 0, 1, vcc
	v_cmp_ne_u32_e32 vcc, v14, v19
	v_cndmask_b32_e64 v14, 0, 1, vcc
	v_or_b32_e32 v5, v21, v5
	v_cmp_gt_i32_e32 vcc, 1, v11
	v_cndmask_b32_e32 v5, v18, v5, vcc
	v_or_b32_e32 v14, v22, v14
	v_cmp_gt_i32_e32 vcc, 1, v16
	v_and_b32_e32 v17, 7, v5
	v_cndmask_b32_e32 v14, v20, v14, vcc
	v_cmp_lt_i32_e32 vcc, 5, v17
	v_cmp_eq_u32_e64 s[0:1], 3, v17
	v_lshrrev_b32_e32 v5, 2, v5
	v_and_b32_e32 v18, 7, v14
	s_or_b64 vcc, s[0:1], vcc
	v_cmp_lt_i32_e64 s[2:3], 5, v18
	v_cmp_eq_u32_e64 s[4:5], 3, v18
	v_addc_co_u32_e32 v5, vcc, 0, v5, vcc
	v_lshrrev_b32_e32 v14, 2, v14
	s_or_b64 vcc, s[4:5], s[2:3]
	v_addc_co_u32_e32 v14, vcc, 0, v14, vcc
	v_cmp_gt_i32_e32 vcc, 31, v11
	v_cndmask_b32_e32 v5, v2, v5, vcc
	v_cmp_gt_i32_e32 vcc, 31, v16
	v_lshl_or_b32 v1, v1, 9, v2
	v_cndmask_b32_e32 v14, v2, v14, vcc
	v_cmp_eq_u32_e32 vcc, s11, v11
	v_lshrrev_b32_e32 v6, 16, v6
	v_lshl_or_b32 v7, v7, 9, v2
	v_cndmask_b32_e32 v1, v5, v1, vcc
	v_cmp_eq_u32_e32 vcc, s11, v16
	v_lshrrev_b32_e32 v8, 16, v8
	v_cndmask_b32_e32 v5, v14, v7, vcc
	v_and_or_b32 v1, v6, s14, v1
	v_and_or_b32 v5, v8, s14, v5
	v_and_b32_e32 v1, 0xffff, v1
	v_lshl_or_b32 v1, v5, 16, v1
	global_store_dword v[9:10], v1, off
	global_load_dword v1, v[12:13], off offset:1244
	ds_read2_b32 v[5:6], v15 offset0:55 offset1:76
	v_add_co_u32_e32 v9, vcc, s6, v9
	v_addc_co_u32_e32 v10, vcc, v10, v0, vcc
	s_waitcnt lgkmcnt(0)
	v_lshrrev_b32_e32 v7, 16, v5
	s_waitcnt vmcnt(0)
	v_mul_f16_sdwa v8, v7, v1 dst_sel:DWORD dst_unused:UNUSED_PAD src0_sel:DWORD src1_sel:WORD_1
	v_fma_f16 v8, v5, v1, v8
	v_mul_f16_sdwa v5, v5, v1 dst_sel:DWORD dst_unused:UNUSED_PAD src0_sel:DWORD src1_sel:WORD_1
	v_cvt_f32_f16_e32 v8, v8
	v_fma_f16 v1, v1, v7, -v5
	v_cvt_f32_f16_e32 v1, v1
	v_cvt_f64_f32_e32 v[7:8], v8
	v_cvt_f64_f32_e32 v[14:15], v1
	v_mul_f64 v[7:8], v[7:8], s[12:13]
	v_mul_f64 v[14:15], v[14:15], s[12:13]
	v_and_or_b32 v0, v8, s15, v7
	v_lshrrev_b32_e32 v1, 8, v8
	v_bfe_u32 v5, v8, 20, 11
	v_lshrrev_b32_e32 v7, 16, v8
	v_and_or_b32 v8, v15, s15, v14
	v_cmp_ne_u32_e32 vcc, 0, v0
	v_cndmask_b32_e64 v0, 0, 1, vcc
	v_cmp_ne_u32_e32 vcc, 0, v8
	v_lshrrev_b32_e32 v11, 8, v15
	v_bfe_u32 v14, v15, 20, 11
	v_sub_u32_e32 v16, 0x3f1, v5
	v_cndmask_b32_e64 v8, 0, 1, vcc
	v_and_or_b32 v0, v1, s10, v0
	v_sub_u32_e32 v17, 0x3f1, v14
	v_med3_i32 v1, v16, 0, 13
	v_and_or_b32 v8, v11, s10, v8
	v_or_b32_e32 v16, 0x1000, v0
	v_add_u32_e32 v5, 0xfffffc10, v5
	v_med3_i32 v11, v17, 0, 13
	v_cmp_ne_u32_e32 vcc, 0, v0
	v_or_b32_e32 v18, 0x1000, v8
	v_lshrrev_b32_e32 v20, v1, v16
	v_add_u32_e32 v14, 0xfffffc10, v14
	v_lshl_or_b32 v17, v5, 12, v0
	v_cndmask_b32_e64 v0, 0, 1, vcc
	v_cmp_ne_u32_e32 vcc, 0, v8
	v_lshrrev_b32_e32 v21, v11, v18
	v_lshlrev_b32_e32 v1, v1, v20
	v_lshl_or_b32 v19, v14, 12, v8
	v_cndmask_b32_e64 v8, 0, 1, vcc
	v_lshlrev_b32_e32 v11, v11, v21
	v_cmp_ne_u32_e32 vcc, v1, v16
	v_cndmask_b32_e64 v1, 0, 1, vcc
	v_cmp_ne_u32_e32 vcc, v11, v18
	v_cndmask_b32_e64 v11, 0, 1, vcc
	v_or_b32_e32 v1, v20, v1
	v_cmp_gt_i32_e32 vcc, 1, v5
	v_cndmask_b32_e32 v1, v17, v1, vcc
	v_or_b32_e32 v11, v21, v11
	v_cmp_gt_i32_e32 vcc, 1, v14
	v_and_b32_e32 v16, 7, v1
	v_cndmask_b32_e32 v11, v19, v11, vcc
	v_cmp_lt_i32_e32 vcc, 5, v16
	v_cmp_eq_u32_e64 s[0:1], 3, v16
	v_lshrrev_b32_e32 v1, 2, v1
	v_and_b32_e32 v17, 7, v11
	s_or_b64 vcc, s[0:1], vcc
	v_cmp_lt_i32_e64 s[2:3], 5, v17
	v_cmp_eq_u32_e64 s[4:5], 3, v17
	v_addc_co_u32_e32 v1, vcc, 0, v1, vcc
	v_lshrrev_b32_e32 v11, 2, v11
	s_or_b64 vcc, s[4:5], s[2:3]
	v_addc_co_u32_e32 v11, vcc, 0, v11, vcc
	v_cmp_gt_i32_e32 vcc, 31, v5
	v_cndmask_b32_e32 v1, v2, v1, vcc
	v_cmp_gt_i32_e32 vcc, 31, v14
	v_lshl_or_b32 v0, v0, 9, v2
	v_cndmask_b32_e32 v11, v2, v11, vcc
	v_cmp_eq_u32_e32 vcc, s11, v5
	v_lshl_or_b32 v8, v8, 9, v2
	v_cndmask_b32_e32 v0, v1, v0, vcc
	v_cmp_eq_u32_e32 vcc, s11, v14
	v_lshrrev_b32_e32 v15, 16, v15
	v_cndmask_b32_e32 v1, v11, v8, vcc
	v_and_or_b32 v0, v7, s14, v0
	v_and_or_b32 v1, v15, s14, v1
	v_and_b32_e32 v0, 0xffff, v0
	v_lshl_or_b32 v0, v1, 16, v0
	global_store_dword v[9:10], v0, off
	global_load_dword v5, v[12:13], off offset:1328
	v_lshrrev_b32_e32 v8, 16, v6
	v_or_b32_e32 v7, 0x14c, v66
	v_mad_u64_u32 v[0:1], s[0:1], s8, v7, 0
	s_waitcnt vmcnt(0)
	v_mul_f16_sdwa v11, v8, v5 dst_sel:DWORD dst_unused:UNUSED_PAD src0_sel:DWORD src1_sel:WORD_1
	v_fma_f16 v11, v6, v5, v11
	v_mul_f16_sdwa v6, v6, v5 dst_sel:DWORD dst_unused:UNUSED_PAD src0_sel:DWORD src1_sel:WORD_1
	v_cvt_f32_f16_e32 v11, v11
	v_fma_f16 v5, v5, v8, -v6
	v_cvt_f32_f16_e32 v14, v5
	v_mad_u64_u32 v[7:8], s[0:1], s9, v7, v[1:2]
	v_cvt_f64_f32_e32 v[5:6], v11
	v_cvt_f64_f32_e32 v[14:15], v14
	v_mov_b32_e32 v1, v7
	v_lshlrev_b64 v[0:1], 2, v[0:1]
	v_mul_f64 v[5:6], v[5:6], s[12:13]
	v_mul_f64 v[7:8], v[14:15], s[12:13]
	v_add_co_u32_e32 v0, vcc, v3, v0
	v_addc_co_u32_e32 v1, vcc, v4, v1, vcc
	v_and_or_b32 v3, v6, s15, v5
	v_and_or_b32 v7, v8, s15, v7
	v_cmp_ne_u32_e32 vcc, 0, v3
	v_lshrrev_b32_e32 v4, 8, v6
	v_bfe_u32 v5, v6, 20, 11
	v_cndmask_b32_e64 v3, 0, 1, vcc
	v_cmp_ne_u32_e32 vcc, 0, v7
	v_lshrrev_b32_e32 v11, 8, v8
	v_bfe_u32 v14, v8, 20, 11
	v_sub_u32_e32 v15, 0x3f1, v5
	v_cndmask_b32_e64 v7, 0, 1, vcc
	v_and_or_b32 v3, v4, s10, v3
	v_sub_u32_e32 v16, 0x3f1, v14
	v_med3_i32 v4, v15, 0, 13
	v_and_or_b32 v7, v11, s10, v7
	v_or_b32_e32 v15, 0x1000, v3
	v_add_u32_e32 v5, 0xfffffc10, v5
	v_med3_i32 v11, v16, 0, 13
	v_cmp_ne_u32_e32 vcc, 0, v3
	v_or_b32_e32 v17, 0x1000, v7
	v_lshrrev_b32_e32 v19, v4, v15
	v_add_u32_e32 v14, 0xfffffc10, v14
	v_lshl_or_b32 v16, v5, 12, v3
	v_cndmask_b32_e64 v3, 0, 1, vcc
	v_cmp_ne_u32_e32 vcc, 0, v7
	v_lshrrev_b32_e32 v20, v11, v17
	v_lshlrev_b32_e32 v4, v4, v19
	v_lshl_or_b32 v18, v14, 12, v7
	v_cndmask_b32_e64 v7, 0, 1, vcc
	v_lshlrev_b32_e32 v11, v11, v20
	v_cmp_ne_u32_e32 vcc, v4, v15
	v_cndmask_b32_e64 v4, 0, 1, vcc
	v_cmp_ne_u32_e32 vcc, v11, v17
	v_cndmask_b32_e64 v11, 0, 1, vcc
	v_or_b32_e32 v4, v19, v4
	v_cmp_gt_i32_e32 vcc, 1, v5
	v_cndmask_b32_e32 v4, v16, v4, vcc
	v_or_b32_e32 v11, v20, v11
	v_cmp_gt_i32_e32 vcc, 1, v14
	v_and_b32_e32 v15, 7, v4
	v_cndmask_b32_e32 v11, v18, v11, vcc
	v_cmp_lt_i32_e32 vcc, 5, v15
	v_cmp_eq_u32_e64 s[0:1], 3, v15
	v_lshrrev_b32_e32 v4, 2, v4
	v_and_b32_e32 v16, 7, v11
	s_or_b64 vcc, s[0:1], vcc
	v_cmp_lt_i32_e64 s[2:3], 5, v16
	v_cmp_eq_u32_e64 s[4:5], 3, v16
	v_addc_co_u32_e32 v4, vcc, 0, v4, vcc
	v_lshrrev_b32_e32 v11, 2, v11
	s_or_b64 vcc, s[4:5], s[2:3]
	v_addc_co_u32_e32 v11, vcc, 0, v11, vcc
	v_cmp_gt_i32_e32 vcc, 31, v5
	v_cndmask_b32_e32 v4, v2, v4, vcc
	v_cmp_gt_i32_e32 vcc, 31, v14
	v_lshl_or_b32 v3, v3, 9, v2
	v_cndmask_b32_e32 v11, v2, v11, vcc
	v_cmp_eq_u32_e32 vcc, s11, v5
	v_lshrrev_b32_e32 v6, 16, v6
	v_lshl_or_b32 v7, v7, 9, v2
	v_cndmask_b32_e32 v3, v4, v3, vcc
	v_cmp_eq_u32_e32 vcc, s11, v14
	v_lshrrev_b32_e32 v8, 16, v8
	v_cndmask_b32_e32 v4, v11, v7, vcc
	v_and_or_b32 v3, v6, s14, v3
	v_and_or_b32 v4, v8, s14, v4
	v_and_b32_e32 v3, 0xffff, v3
	v_lshl_or_b32 v3, v4, 16, v3
	global_store_dword v[0:1], v3, off
	global_load_dword v0, v[12:13], off offset:1412
	ds_read_b32 v1, v65 offset:1412
	v_mov_b32_e32 v5, s16
	s_waitcnt lgkmcnt(0)
	v_lshrrev_b32_e32 v3, 16, v1
	s_waitcnt vmcnt(0)
	v_mul_f16_sdwa v4, v3, v0 dst_sel:DWORD dst_unused:UNUSED_PAD src0_sel:DWORD src1_sel:WORD_1
	v_fma_f16 v4, v1, v0, v4
	v_mul_f16_sdwa v1, v1, v0 dst_sel:DWORD dst_unused:UNUSED_PAD src0_sel:DWORD src1_sel:WORD_1
	v_cvt_f32_f16_e32 v4, v4
	v_fma_f16 v0, v0, v3, -v1
	v_cvt_f32_f16_e32 v3, v0
	v_cvt_f64_f32_e32 v[0:1], v4
	v_cvt_f64_f32_e32 v[3:4], v3
	v_mul_f64 v[0:1], v[0:1], s[12:13]
	v_mul_f64 v[3:4], v[3:4], s[12:13]
	v_and_or_b32 v0, v1, s15, v0
	v_cmp_ne_u32_e32 vcc, 0, v0
	v_and_or_b32 v3, v4, s15, v3
	v_lshrrev_b32_e32 v6, 8, v1
	v_bfe_u32 v7, v1, 20, 11
	v_cndmask_b32_e64 v0, 0, 1, vcc
	v_cmp_ne_u32_e32 vcc, 0, v3
	v_lshrrev_b32_e32 v8, 8, v4
	v_bfe_u32 v11, v4, 20, 11
	v_sub_u32_e32 v12, 0x3f1, v7
	v_cndmask_b32_e64 v3, 0, 1, vcc
	v_and_or_b32 v0, v6, s10, v0
	v_sub_u32_e32 v13, 0x3f1, v11
	v_med3_i32 v6, v12, 0, 13
	v_and_or_b32 v3, v8, s10, v3
	v_or_b32_e32 v12, 0x1000, v0
	v_add_u32_e32 v7, 0xfffffc10, v7
	v_med3_i32 v8, v13, 0, 13
	v_cmp_ne_u32_e32 vcc, 0, v0
	v_or_b32_e32 v14, 0x1000, v3
	v_lshrrev_b32_e32 v16, v6, v12
	v_add_u32_e32 v11, 0xfffffc10, v11
	v_lshl_or_b32 v13, v7, 12, v0
	v_cndmask_b32_e64 v0, 0, 1, vcc
	v_cmp_ne_u32_e32 vcc, 0, v3
	v_lshrrev_b32_e32 v17, v8, v14
	v_lshlrev_b32_e32 v6, v6, v16
	v_lshl_or_b32 v15, v11, 12, v3
	v_cndmask_b32_e64 v3, 0, 1, vcc
	v_lshlrev_b32_e32 v8, v8, v17
	v_cmp_ne_u32_e32 vcc, v6, v12
	v_cndmask_b32_e64 v6, 0, 1, vcc
	v_cmp_ne_u32_e32 vcc, v8, v14
	v_cndmask_b32_e64 v8, 0, 1, vcc
	v_or_b32_e32 v6, v16, v6
	v_cmp_gt_i32_e32 vcc, 1, v7
	v_cndmask_b32_e32 v6, v13, v6, vcc
	v_or_b32_e32 v8, v17, v8
	v_cmp_gt_i32_e32 vcc, 1, v11
	v_and_b32_e32 v12, 7, v6
	v_cndmask_b32_e32 v8, v15, v8, vcc
	v_cmp_lt_i32_e32 vcc, 5, v12
	v_cmp_eq_u32_e64 s[0:1], 3, v12
	v_lshrrev_b32_e32 v6, 2, v6
	v_and_b32_e32 v13, 7, v8
	s_or_b64 vcc, s[0:1], vcc
	v_cmp_lt_i32_e64 s[2:3], 5, v13
	v_cmp_eq_u32_e64 s[4:5], 3, v13
	v_addc_co_u32_e32 v6, vcc, 0, v6, vcc
	v_lshrrev_b32_e32 v8, 2, v8
	s_or_b64 vcc, s[4:5], s[2:3]
	v_addc_co_u32_e32 v8, vcc, 0, v8, vcc
	v_cmp_gt_i32_e32 vcc, 31, v7
	v_cndmask_b32_e32 v6, v2, v6, vcc
	v_cmp_gt_i32_e32 vcc, 31, v11
	v_lshl_or_b32 v0, v0, 9, v2
	v_lshl_or_b32 v3, v3, 9, v2
	v_cndmask_b32_e32 v2, v2, v8, vcc
	v_cmp_eq_u32_e32 vcc, s11, v7
	v_lshrrev_b32_e32 v1, 16, v1
	v_cndmask_b32_e32 v0, v6, v0, vcc
	v_cmp_eq_u32_e32 vcc, s11, v11
	v_lshrrev_b32_e32 v4, 16, v4
	v_cndmask_b32_e32 v2, v2, v3, vcc
	v_and_or_b32 v0, v1, s14, v0
	v_and_or_b32 v1, v4, s14, v2
	v_and_b32_e32 v0, 0xffff, v0
	v_lshl_or_b32 v2, v1, 16, v0
	v_add_co_u32_e32 v0, vcc, s7, v9
	v_addc_co_u32_e32 v1, vcc, v10, v5, vcc
	global_store_dword v[0:1], v2, off
.LBB0_15:
	s_endpgm
	.section	.rodata,"a",@progbits
	.p2align	6, 0x0
	.amdhsa_kernel bluestein_single_back_len357_dim1_half_op_CI_CI
		.amdhsa_group_segment_fixed_size 15708
		.amdhsa_private_segment_fixed_size 0
		.amdhsa_kernarg_size 104
		.amdhsa_user_sgpr_count 6
		.amdhsa_user_sgpr_private_segment_buffer 1
		.amdhsa_user_sgpr_dispatch_ptr 0
		.amdhsa_user_sgpr_queue_ptr 0
		.amdhsa_user_sgpr_kernarg_segment_ptr 1
		.amdhsa_user_sgpr_dispatch_id 0
		.amdhsa_user_sgpr_flat_scratch_init 0
		.amdhsa_user_sgpr_private_segment_size 0
		.amdhsa_uses_dynamic_stack 0
		.amdhsa_system_sgpr_private_segment_wavefront_offset 0
		.amdhsa_system_sgpr_workgroup_id_x 1
		.amdhsa_system_sgpr_workgroup_id_y 0
		.amdhsa_system_sgpr_workgroup_id_z 0
		.amdhsa_system_sgpr_workgroup_info 0
		.amdhsa_system_vgpr_workitem_id 0
		.amdhsa_next_free_vgpr 255
		.amdhsa_next_free_sgpr 38
		.amdhsa_reserve_vcc 1
		.amdhsa_reserve_flat_scratch 0
		.amdhsa_float_round_mode_32 0
		.amdhsa_float_round_mode_16_64 0
		.amdhsa_float_denorm_mode_32 3
		.amdhsa_float_denorm_mode_16_64 3
		.amdhsa_dx10_clamp 1
		.amdhsa_ieee_mode 1
		.amdhsa_fp16_overflow 0
		.amdhsa_exception_fp_ieee_invalid_op 0
		.amdhsa_exception_fp_denorm_src 0
		.amdhsa_exception_fp_ieee_div_zero 0
		.amdhsa_exception_fp_ieee_overflow 0
		.amdhsa_exception_fp_ieee_underflow 0
		.amdhsa_exception_fp_ieee_inexact 0
		.amdhsa_exception_int_div_zero 0
	.end_amdhsa_kernel
	.text
.Lfunc_end0:
	.size	bluestein_single_back_len357_dim1_half_op_CI_CI, .Lfunc_end0-bluestein_single_back_len357_dim1_half_op_CI_CI
                                        ; -- End function
	.section	.AMDGPU.csdata,"",@progbits
; Kernel info:
; codeLenInByte = 52376
; NumSgprs: 42
; NumVgprs: 255
; ScratchSize: 0
; MemoryBound: 0
; FloatMode: 240
; IeeeMode: 1
; LDSByteSize: 15708 bytes/workgroup (compile time only)
; SGPRBlocks: 5
; VGPRBlocks: 63
; NumSGPRsForWavesPerEU: 42
; NumVGPRsForWavesPerEU: 255
; Occupancy: 1
; WaveLimiterHint : 1
; COMPUTE_PGM_RSRC2:SCRATCH_EN: 0
; COMPUTE_PGM_RSRC2:USER_SGPR: 6
; COMPUTE_PGM_RSRC2:TRAP_HANDLER: 0
; COMPUTE_PGM_RSRC2:TGID_X_EN: 1
; COMPUTE_PGM_RSRC2:TGID_Y_EN: 0
; COMPUTE_PGM_RSRC2:TGID_Z_EN: 0
; COMPUTE_PGM_RSRC2:TIDIG_COMP_CNT: 0
	.type	__hip_cuid_9f0e62f251b10d1a,@object ; @__hip_cuid_9f0e62f251b10d1a
	.section	.bss,"aw",@nobits
	.globl	__hip_cuid_9f0e62f251b10d1a
__hip_cuid_9f0e62f251b10d1a:
	.byte	0                               ; 0x0
	.size	__hip_cuid_9f0e62f251b10d1a, 1

	.ident	"AMD clang version 19.0.0git (https://github.com/RadeonOpenCompute/llvm-project roc-6.4.0 25133 c7fe45cf4b819c5991fe208aaa96edf142730f1d)"
	.section	".note.GNU-stack","",@progbits
	.addrsig
	.addrsig_sym __hip_cuid_9f0e62f251b10d1a
	.amdgpu_metadata
---
amdhsa.kernels:
  - .args:
      - .actual_access:  read_only
        .address_space:  global
        .offset:         0
        .size:           8
        .value_kind:     global_buffer
      - .actual_access:  read_only
        .address_space:  global
        .offset:         8
        .size:           8
        .value_kind:     global_buffer
      - .actual_access:  read_only
        .address_space:  global
        .offset:         16
        .size:           8
        .value_kind:     global_buffer
      - .actual_access:  read_only
        .address_space:  global
        .offset:         24
        .size:           8
        .value_kind:     global_buffer
      - .actual_access:  read_only
        .address_space:  global
        .offset:         32
        .size:           8
        .value_kind:     global_buffer
      - .offset:         40
        .size:           8
        .value_kind:     by_value
      - .address_space:  global
        .offset:         48
        .size:           8
        .value_kind:     global_buffer
      - .address_space:  global
        .offset:         56
        .size:           8
        .value_kind:     global_buffer
      - .address_space:  global
        .offset:         64
        .size:           8
        .value_kind:     global_buffer
      - .address_space:  global
        .offset:         72
        .size:           8
        .value_kind:     global_buffer
      - .offset:         80
        .size:           4
        .value_kind:     by_value
      - .address_space:  global
        .offset:         88
        .size:           8
        .value_kind:     global_buffer
      - .address_space:  global
        .offset:         96
        .size:           8
        .value_kind:     global_buffer
    .group_segment_fixed_size: 15708
    .kernarg_segment_align: 8
    .kernarg_segment_size: 104
    .language:       OpenCL C
    .language_version:
      - 2
      - 0
    .max_flat_workgroup_size: 187
    .name:           bluestein_single_back_len357_dim1_half_op_CI_CI
    .private_segment_fixed_size: 0
    .sgpr_count:     42
    .sgpr_spill_count: 0
    .symbol:         bluestein_single_back_len357_dim1_half_op_CI_CI.kd
    .uniform_work_group_size: 1
    .uses_dynamic_stack: false
    .vgpr_count:     255
    .vgpr_spill_count: 0
    .wavefront_size: 64
amdhsa.target:   amdgcn-amd-amdhsa--gfx906
amdhsa.version:
  - 1
  - 2
...

	.end_amdgpu_metadata
